;; amdgpu-corpus repo=ROCm/rocFFT kind=compiled arch=gfx1201 opt=O3
	.text
	.amdgcn_target "amdgcn-amd-amdhsa--gfx1201"
	.amdhsa_code_object_version 6
	.protected	bluestein_single_back_len153_dim1_half_op_CI_CI ; -- Begin function bluestein_single_back_len153_dim1_half_op_CI_CI
	.globl	bluestein_single_back_len153_dim1_half_op_CI_CI
	.p2align	8
	.type	bluestein_single_back_len153_dim1_half_op_CI_CI,@function
bluestein_single_back_len153_dim1_half_op_CI_CI: ; @bluestein_single_back_len153_dim1_half_op_CI_CI
; %bb.0:
	s_load_b128 s[4:7], s[0:1], 0x28
	v_mul_u32_u24_e32 v1, 0xf10, v0
	s_mov_b32 s2, exec_lo
	s_delay_alu instid0(VALU_DEP_1) | instskip(NEXT) | instid1(VALU_DEP_1)
	v_lshrrev_b32_e32 v1, 16, v1
	v_mad_co_u64_u32 v[8:9], null, ttmp9, 7, v[1:2]
	v_mov_b32_e32 v9, 0
	s_wait_kmcnt 0x0
	s_delay_alu instid0(VALU_DEP_1)
	v_cmpx_gt_u64_e64 s[4:5], v[8:9]
	s_cbranch_execz .LBB0_15
; %bb.1:
	v_mul_hi_u32 v2, 0x24924925, v8
	v_mul_lo_u16 v1, v1, 17
	s_clause 0x1
	s_load_b64 s[12:13], s[0:1], 0x0
	s_load_b64 s[14:15], s[0:1], 0x38
	s_delay_alu instid0(VALU_DEP_1) | instskip(NEXT) | instid1(VALU_DEP_3)
	v_sub_nc_u16 v0, v0, v1
	v_sub_nc_u32_e32 v3, v8, v2
	s_delay_alu instid0(VALU_DEP_2) | instskip(SKIP_1) | instid1(VALU_DEP_3)
	v_and_b32_e32 v28, 0xffff, v0
	v_cmp_gt_u16_e32 vcc_lo, 9, v0
	v_lshrrev_b32_e32 v3, 1, v3
	s_delay_alu instid0(VALU_DEP_3) | instskip(SKIP_1) | instid1(VALU_DEP_3)
	v_lshlrev_b32_e32 v26, 2, v28
	v_or_b32_e32 v25, 0x90, v28
	v_add_nc_u32_e32 v2, v3, v2
	s_delay_alu instid0(VALU_DEP_1) | instskip(NEXT) | instid1(VALU_DEP_1)
	v_lshrrev_b32_e32 v2, 2, v2
	v_mul_lo_u32 v2, v2, 7
	s_delay_alu instid0(VALU_DEP_1) | instskip(NEXT) | instid1(VALU_DEP_1)
	v_sub_nc_u32_e32 v1, v8, v2
	v_mul_u32_u24_e32 v27, 0x99, v1
	s_delay_alu instid0(VALU_DEP_1)
	v_lshlrev_b32_e32 v29, 2, v27
	s_and_saveexec_b32 s3, vcc_lo
	s_cbranch_execz .LBB0_3
; %bb.2:
	s_load_b64 s[4:5], s[0:1], 0x18
	s_wait_kmcnt 0x0
	s_load_b128 s[8:11], s[4:5], 0x0
	s_wait_kmcnt 0x0
	v_mad_co_u64_u32 v[0:1], null, s10, v8, 0
	v_mad_co_u64_u32 v[2:3], null, s8, v28, 0
	;; [unrolled: 1-line block ×3, first 2 shown]
	s_mul_u64 s[4:5], s[8:9], 36
	s_delay_alu instid0(VALU_DEP_2) | instskip(NEXT) | instid1(VALU_DEP_2)
	v_mad_co_u64_u32 v[6:7], null, s11, v8, v[1:2]
	v_mad_co_u64_u32 v[9:10], null, s9, v28, v[3:4]
	s_clause 0x7
	global_load_b32 v7, v26, s[12:13]
	global_load_b32 v12, v26, s[12:13] offset:36
	global_load_b32 v13, v26, s[12:13] offset:72
	;; [unrolled: 1-line block ×7, first 2 shown]
	v_mad_co_u64_u32 v[10:11], null, s9, v25, v[5:6]
	v_mov_b32_e32 v1, v6
	v_mov_b32_e32 v3, v9
	s_clause 0x7
	global_load_b32 v6, v26, s[12:13] offset:288
	global_load_b32 v11, v26, s[12:13] offset:324
	;; [unrolled: 1-line block ×8, first 2 shown]
	v_lshlrev_b64_e32 v[0:1], 2, v[0:1]
	v_mov_b32_e32 v5, v10
	v_lshlrev_b64_e32 v[2:3], 2, v[2:3]
	s_delay_alu instid0(VALU_DEP_3) | instskip(NEXT) | instid1(VALU_DEP_1)
	v_add_co_u32 v10, s2, s6, v0
	v_add_co_ci_u32_e64 v24, s2, s7, v1, s2
	s_delay_alu instid0(VALU_DEP_4) | instskip(NEXT) | instid1(VALU_DEP_3)
	v_lshlrev_b64_e32 v[0:1], 2, v[4:5]
	v_add_co_u32 v2, s2, v10, v2
	s_wait_alu 0xf1ff
	s_delay_alu instid0(VALU_DEP_3) | instskip(NEXT) | instid1(VALU_DEP_3)
	v_add_co_ci_u32_e64 v3, s2, v24, v3, s2
	v_add_co_u32 v0, s2, v10, v0
	s_wait_alu 0xf1ff
	v_add_co_ci_u32_e64 v1, s2, v24, v1, s2
	s_wait_alu 0xfffe
	v_add_co_u32 v4, s2, v2, s4
	s_wait_alu 0xf1ff
	v_add_co_ci_u32_e64 v5, s2, s5, v3, s2
	global_load_b32 v10, v[2:3], off
	global_load_b32 v24, v26, s[12:13] offset:540
	s_clause 0x1
	global_load_b32 v30, v[0:1], off
	global_load_b32 v31, v[4:5], off
	v_add_co_u32 v0, s2, v4, s4
	s_wait_alu 0xf1ff
	v_add_co_ci_u32_e64 v1, s2, s5, v5, s2
	s_delay_alu instid0(VALU_DEP_2) | instskip(SKIP_1) | instid1(VALU_DEP_2)
	v_add_co_u32 v2, s2, v0, s4
	s_wait_alu 0xf1ff
	v_add_co_ci_u32_e64 v3, s2, s5, v1, s2
	global_load_b32 v4, v[0:1], off
	v_add_co_u32 v0, s2, v2, s4
	s_wait_alu 0xf1ff
	v_add_co_ci_u32_e64 v1, s2, s5, v3, s2
	s_clause 0x1
	global_load_b32 v5, v[2:3], off
	global_load_b32 v32, v[0:1], off
	v_add_co_u32 v0, s2, v0, s4
	s_wait_alu 0xf1ff
	v_add_co_ci_u32_e64 v1, s2, s5, v1, s2
	s_delay_alu instid0(VALU_DEP_2) | instskip(SKIP_1) | instid1(VALU_DEP_2)
	v_add_co_u32 v2, s2, v0, s4
	s_wait_alu 0xf1ff
	v_add_co_ci_u32_e64 v3, s2, s5, v1, s2
	global_load_b32 v33, v[0:1], off
	global_load_b32 v34, v[2:3], off
	v_add_co_u32 v0, s2, v2, s4
	s_wait_alu 0xf1ff
	v_add_co_ci_u32_e64 v1, s2, s5, v3, s2
	s_delay_alu instid0(VALU_DEP_2) | instskip(SKIP_1) | instid1(VALU_DEP_2)
	v_add_co_u32 v2, s2, v0, s4
	s_wait_alu 0xf1ff
	v_add_co_ci_u32_e64 v3, s2, s5, v1, s2
	global_load_b32 v35, v[0:1], off
	v_add_co_u32 v0, s2, v2, s4
	s_wait_alu 0xf1ff
	v_add_co_ci_u32_e64 v1, s2, s5, v3, s2
	global_load_b32 v36, v[2:3], off
	global_load_b32 v37, v[0:1], off
	v_add_co_u32 v0, s2, v0, s4
	s_wait_alu 0xf1ff
	v_add_co_ci_u32_e64 v1, s2, s5, v1, s2
	s_delay_alu instid0(VALU_DEP_2) | instskip(SKIP_1) | instid1(VALU_DEP_2)
	v_add_co_u32 v2, s2, v0, s4
	s_wait_alu 0xf1ff
	v_add_co_ci_u32_e64 v3, s2, s5, v1, s2
	global_load_b32 v38, v[0:1], off
	v_add_co_u32 v0, s2, v2, s4
	s_wait_alu 0xf1ff
	v_add_co_ci_u32_e64 v1, s2, s5, v3, s2
	global_load_b32 v39, v[2:3], off
	;; [unrolled: 4-line block ×5, first 2 shown]
	global_load_b32 v1, v[2:3], off
	v_lshl_add_u32 v2, v28, 2, v29
	v_add_nc_u32_e32 v3, v29, v26
	s_wait_loadcnt 0x21
	v_lshrrev_b32_e32 v42, 16, v7
	s_wait_loadcnt 0x20
	v_lshrrev_b32_e32 v43, 16, v12
	;; [unrolled: 2-line block ×17, first 2 shown]
	v_mul_f16_e32 v59, v42, v10
	s_wait_loadcnt 0xf
	v_lshrrev_b32_e32 v61, 16, v30
	v_mul_f16_e32 v62, v57, v30
	s_wait_loadcnt 0xe
	v_mul_f16_e32 v63, v43, v31
	v_mul_f16_e32 v42, v42, v58
	v_fma_f16 v58, v7, v58, -v59
	v_lshrrev_b32_e32 v59, 16, v31
	v_mul_f16_e32 v57, v57, v61
	v_fma_f16 v61, v9, v61, -v62
	v_fmac_f16_e32 v42, v7, v10
	v_lshrrev_b32_e32 v60, 16, v24
	v_mul_f16_e32 v7, v43, v59
	s_wait_loadcnt 0xd
	v_lshrrev_b32_e32 v43, 16, v4
	v_fma_f16 v10, v12, v59, -v63
	v_mul_f16_e32 v59, v44, v4
	v_fmac_f16_e32 v57, v9, v30
	v_pack_b32_f16 v9, v42, v58
	v_fmac_f16_e32 v7, v12, v31
	v_mul_f16_e32 v12, v44, v43
	s_wait_loadcnt 0xc
	v_lshrrev_b32_e32 v31, 16, v5
	v_fma_f16 v30, v13, v43, -v59
	v_mul_f16_e32 v42, v45, v5
	ds_store_b32 v2, v9
	v_pack_b32_f16 v2, v7, v10
	v_fmac_f16_e32 v12, v13, v4
	v_mul_f16_e32 v4, v45, v31
	s_wait_loadcnt 0xb
	v_lshrrev_b32_e32 v7, 16, v32
	v_mul_f16_e32 v9, v46, v32
	v_fma_f16 v10, v14, v31, -v42
	v_pack_b32_f16 v12, v12, v30
	v_fmac_f16_e32 v4, v14, v5
	v_mul_f16_e32 v5, v46, v7
	v_fma_f16 v7, v15, v7, -v9
	s_wait_loadcnt 0xa
	v_lshrrev_b32_e32 v9, 16, v33
	v_mul_f16_e32 v13, v47, v33
	ds_store_2addr_b32 v3, v2, v12 offset0:9 offset1:18
	v_pack_b32_f16 v2, v4, v10
	v_fmac_f16_e32 v5, v15, v32
	v_mul_f16_e32 v4, v47, v9
	s_wait_loadcnt 0x9
	v_lshrrev_b32_e32 v10, 16, v34
	v_mul_f16_e32 v12, v48, v34
	v_fma_f16 v9, v16, v9, -v13
	v_pack_b32_f16 v5, v5, v7
	v_fmac_f16_e32 v4, v16, v33
	v_mul_f16_e32 v7, v48, v10
	v_fma_f16 v10, v17, v10, -v12
	s_wait_loadcnt 0x8
	v_lshrrev_b32_e32 v12, 16, v35
	v_mul_f16_e32 v13, v49, v35
	ds_store_2addr_b32 v3, v2, v5 offset0:27 offset1:36
	;; [unrolled: 15-line block ×3, first 2 shown]
	v_pack_b32_f16 v2, v4, v12
	v_fmac_f16_e32 v10, v6, v36
	v_mul_f16_e32 v4, v51, v9
	s_wait_loadcnt 0x5
	v_lshrrev_b32_e32 v6, 16, v38
	v_mul_f16_e32 v7, v52, v38
	v_fma_f16 v9, v11, v9, -v13
	v_pack_b32_f16 v5, v10, v5
	v_fmac_f16_e32 v4, v11, v37
	v_mul_f16_e32 v10, v52, v6
	v_fma_f16 v6, v19, v6, -v7
	s_wait_loadcnt 0x4
	v_lshrrev_b32_e32 v7, 16, v39
	v_mul_f16_e32 v11, v53, v39
	v_pack_b32_f16 v4, v4, v9
	v_fmac_f16_e32 v10, v19, v38
	s_wait_loadcnt 0x3
	v_lshrrev_b32_e32 v9, 16, v40
	v_mul_f16_e32 v12, v53, v7
	v_fma_f16 v7, v20, v7, -v11
	v_mul_f16_e32 v11, v54, v40
	v_pack_b32_f16 v6, v10, v6
	v_mul_f16_e32 v10, v54, v9
	s_wait_loadcnt 0x2
	v_lshrrev_b32_e32 v13, 16, v41
	s_wait_loadcnt 0x1
	v_lshrrev_b32_e32 v14, 16, v0
	v_fma_f16 v9, v21, v9, -v11
	v_mul_f16_e32 v11, v55, v41
	s_wait_loadcnt 0x0
	v_lshrrev_b32_e32 v16, 16, v1
	v_mul_f16_e32 v15, v55, v13
	v_mul_f16_e32 v17, v56, v14
	;; [unrolled: 1-line block ×3, first 2 shown]
	v_fma_f16 v11, v22, v13, -v11
	v_mul_f16_e32 v13, v56, v0
	v_mul_f16_e32 v19, v60, v16
	v_fmac_f16_e32 v12, v20, v39
	v_fmac_f16_e32 v10, v21, v40
	;; [unrolled: 1-line block ×3, first 2 shown]
	v_fma_f16 v13, v23, v14, -v13
	v_fmac_f16_e32 v17, v23, v0
	v_fma_f16 v0, v24, v16, -v18
	v_fmac_f16_e32 v19, v24, v1
	v_pack_b32_f16 v1, v12, v7
	v_pack_b32_f16 v7, v10, v9
	;; [unrolled: 1-line block ×6, first 2 shown]
	ds_store_2addr_b32 v3, v2, v5 offset0:63 offset1:72
	ds_store_2addr_b32 v3, v4, v6 offset0:81 offset1:90
	;; [unrolled: 1-line block ×5, first 2 shown]
.LBB0_3:
	s_or_b32 exec_lo, exec_lo, s3
	s_clause 0x1
	s_load_b64 s[2:3], s[0:1], 0x20
	s_load_b64 s[0:1], s[0:1], 0x8
	v_mov_b32_e32 v6, 0
	global_wb scope:SCOPE_SE
	s_wait_dscnt 0x0
	s_wait_kmcnt 0x0
	s_barrier_signal -1
	s_barrier_wait -1
	global_inv scope:SCOPE_SE
                                        ; implicit-def: $vgpr21
                                        ; implicit-def: $vgpr1
                                        ; implicit-def: $vgpr3
                                        ; implicit-def: $vgpr5
                                        ; implicit-def: $vgpr16
                                        ; implicit-def: $vgpr18
                                        ; implicit-def: $vgpr20
                                        ; implicit-def: $vgpr13
                                        ; implicit-def: $vgpr62
	s_and_saveexec_b32 s4, vcc_lo
	s_cbranch_execz .LBB0_5
; %bb.4:
	v_lshl_add_u32 v9, v27, 2, v26
	ds_load_2addr_b32 v[6:7], v9 offset1:9
	ds_load_2addr_b32 v[12:13], v9 offset0:18 offset1:27
	ds_load_2addr_b32 v[19:20], v9 offset0:36 offset1:45
	;; [unrolled: 1-line block ×7, first 2 shown]
	ds_load_b32 v21, v9 offset:576
	s_wait_dscnt 0x7
	v_alignbit_b32 v62, v12, v12, 16
.LBB0_5:
	s_wait_alu 0xfffe
	s_or_b32 exec_lo, exec_lo, s4
	s_wait_dscnt 0x0
	v_pk_add_f16 v14, v7, v21 neg_lo:[0,1] neg_hi:[0,1]
	v_pk_add_f16 v33, v62, v1 op_sel:[1,0] op_sel_hi:[0,1] neg_lo:[0,1] neg_hi:[0,1]
	v_pk_add_f16 v65, v21, v7
	v_pk_add_f16 v67, v1, v62 op_sel:[1,0] op_sel_hi:[0,1]
	v_pk_add_f16 v37, v13, v0 neg_lo:[0,1] neg_hi:[0,1]
	v_lshrrev_b32_e32 v31, 16, v14
	v_lshrrev_b32_e32 v32, 16, v33
	v_pk_add_f16 v40, v19, v3 neg_lo:[0,1] neg_hi:[0,1]
	v_lshrrev_b32_e32 v71, 16, v67
	v_lshrrev_b32_e32 v82, 16, v37
	v_mul_f16_e32 v45, 0xbbf7, v31
	v_mul_f16_e32 v42, 0xbb29, v31
	v_mul_f16_e32 v50, 0xbbb2, v31
	v_mul_f16_e32 v46, 0xb1e1, v32
	v_mul_f16_e32 v44, 0xba62, v32
	v_fmamk_f16 v10, v65, 0x2de8, v45
	v_fmamk_f16 v9, v65, 0x3722, v42
	;; [unrolled: 1-line block ×3, first 2 shown]
	v_mul_f16_e32 v52, 0x3836, v32
	v_fmamk_f16 v34, v71, 0xbbdd, v46
	v_add_f16_e32 v10, v10, v6
	v_add_f16_e32 v9, v9, v6
	;; [unrolled: 1-line block ×3, first 2 shown]
	v_pk_add_f16 v69, v0, v13
	v_fmamk_f16 v12, v71, 0xb8d2, v44
	v_fmamk_f16 v35, v71, 0xbacd, v52
	v_add_f16_e32 v10, v34, v10
	v_mul_f16_e32 v48, 0x31e1, v82
	v_mul_f16_e32 v53, 0x3bb2, v82
	v_lshrrev_b32_e32 v34, 16, v40
	v_add_f16_e32 v9, v12, v9
	v_add_f16_e32 v11, v35, v11
	v_pk_add_f16 v70, v3, v19
	v_fmamk_f16 v12, v69, 0xbbdd, v48
	v_fmamk_f16 v35, v69, 0xb461, v53
	v_mul_f16_e32 v49, 0x3bb2, v34
	v_pk_add_f16 v118, v20, v2 neg_lo:[0,1] neg_hi:[0,1]
	v_mul_f16_e32 v57, 0x3964, v82
	v_add_f16_e32 v9, v12, v9
	v_add_f16_e32 v10, v35, v10
	v_fmamk_f16 v12, v70, 0xb461, v49
	v_mul_f16_e32 v55, 0x35c8, v34
	v_lshrrev_b32_e32 v35, 16, v118
	v_pk_add_f16 v120, v17, v5 neg_lo:[0,1] neg_hi:[0,1]
	v_pk_mul_f16 v36, 0x3b7639e9, v65
	v_fmamk_f16 v43, v69, 0x39e9, v57
	v_mul_f16_e32 v61, 0xbb29, v34
	v_pk_add_f16 v74, v2, v20
	v_add_f16_e32 v9, v12, v9
	v_fmamk_f16 v12, v70, 0x3b76, v55
	v_mul_f16_e32 v51, 0x3964, v35
	v_lshrrev_b32_e32 v97, 16, v120
	v_pk_mul_f16 v30, 0xbbf7b964, v33
	v_pk_fma_f16 v22, 0xb964b5c8, v14, v36 op_sel:[0,0,1] op_sel_hi:[1,1,0]
	v_add_f16_e32 v11, v43, v11
	v_fmamk_f16 v47, v70, 0x3722, v61
	v_add_f16_e32 v10, v12, v10
	v_fmamk_f16 v12, v74, 0x39e9, v51
	v_mul_f16_e32 v66, 0xb1e1, v35
	v_pk_add_f16 v76, v5, v17
	v_mul_f16_e32 v54, 0xb5c8, v97
	v_pk_fma_f16 v23, 0x2de839e9, v67, v30
	v_pk_mul_f16 v39, 0x3722b8d2, v69
	v_add_f16_e32 v11, v47, v11
	v_add_f16_e32 v9, v12, v9
	v_fmamk_f16 v12, v74, 0xbbdd, v66
	v_fmamk_f16 v58, v76, 0x3b76, v54
	v_lshrrev_b32_e32 v59, 16, v22
	v_pk_fma_f16 v38, 0xba62bb29, v37, v39 op_sel:[0,0,1] op_sel_hi:[1,1,0]
	v_pk_mul_f16 v41, 0x2de8bbdd, v70
	v_mul_f16_e32 v60, 0xbb29, v35
	v_add_f16_e32 v11, v12, v11
	v_add_f16_e32 v9, v58, v9
	v_pk_add_f16 v134, v18, v4 neg_lo:[0,1] neg_hi:[0,1]
	v_add_f16_e32 v12, v59, v6
	v_lshrrev_b32_e32 v58, 16, v23
	v_pk_fma_f16 v43, 0xb1e1bbf7, v40, v41 op_sel:[0,0,1] op_sel_hi:[1,1,0]
	v_pk_mul_f16 v119, 0xb461bacd, v74
	v_fmamk_f16 v56, v74, 0x3722, v60
	v_mul_f16_e32 v72, 0xb836, v97
	v_mul_f16_e32 v81, 0x3bf7, v97
	v_lshrrev_b32_e32 v101, 16, v134
	v_add_f16_e32 v12, v58, v12
	v_lshrrev_b32_e32 v58, 16, v38
	v_pk_fma_f16 v47, 0x3836bbb2, v118, v119 op_sel:[0,0,1] op_sel_hi:[1,1,0]
	v_pk_mul_f16 v123, 0xb8d2b461, v76
	v_add_f16_e32 v10, v56, v10
	v_pk_add_f16 v91, v4, v18
	v_fmamk_f16 v59, v76, 0xbacd, v72
	v_fmamk_f16 v64, v76, 0x2de8, v81
	v_mul_f16_e32 v63, 0xbbf7, v101
	v_add_f16_e32 v12, v58, v12
	v_lshrrev_b32_e32 v68, 16, v43
	v_pk_fma_f16 v56, 0x3bb2ba62, v120, v123 op_sel:[0,0,1] op_sel_hi:[1,1,0]
	v_pk_mul_f16 v142, 0xbacd3722, v91
	v_add_f16_e32 v10, v59, v10
	v_fmamk_f16 v59, v91, 0x2de8, v63
	v_add_f16_e32 v11, v64, v11
	v_add_f16_e32 v12, v68, v12
	v_lshrrev_b32_e32 v64, 16, v47
	v_pk_add_f16 v90, v16, v15
	v_pk_fma_f16 v58, 0x3b29b836, v134, v142 op_sel:[0,0,1] op_sel_hi:[1,1,0]
	v_add_f16_e32 v9, v59, v9
	v_mul_f16_e32 v73, 0x3a62, v101
	v_pk_add_f16 v178, v15, v16 neg_lo:[0,1] neg_hi:[0,1]
	v_add_f16_e32 v12, v64, v12
	v_lshrrev_b32_e32 v59, 16, v56
	v_pk_mul_f16 v179, 0xbbdd3b76, v90
	v_fmamk_f16 v68, v91, 0xb8d2, v73
	v_lshrrev_b32_e32 v161, 16, v178
	v_mul_f16_e32 v83, 0xb5c8, v101
	v_add_f16_e32 v12, v59, v12
	v_lshrrev_b32_e32 v75, 16, v58
	v_pk_fma_f16 v59, 0x35c8b1e1, v178, v179 op_sel:[0,0,1] op_sel_hi:[1,1,0]
	v_mul_f16_e64 v64, 0xb836, v161
	v_add_f16_e32 v68, v68, v10
	v_fmamk_f16 v10, v91, 0x3b76, v83
	v_add_f16_e32 v12, v75, v12
	v_mul_f16_e64 v75, 0x3964, v161
	v_mul_f16_e64 v85, 0xba62, v161
	v_lshrrev_b32_e32 v77, 16, v59
	v_mul_f16_e32 v24, 0xb5c8, v31
	v_fmamk_f16 v78, v90, 0xbacd, v64
	v_add_f16_e32 v11, v10, v11
	v_fmamk_f16 v79, v90, 0x39e9, v75
	v_fmamk_f16 v80, v90, 0xb8d2, v85
	v_add_f16_e32 v10, v77, v12
	v_lshrrev_b32_e32 v138, 16, v65
	v_mul_f16_e32 v77, 0xb964, v14
	v_add_f16_e32 v9, v78, v9
	v_fmamk_f16 v78, v65, 0x3b76, v24
	v_add_f16_e32 v12, v79, v68
	v_add_f16_e32 v11, v80, v11
	v_mul_f16_e32 v68, 0xb964, v32
	v_mul_f16_e32 v86, 0xbb29, v14
	v_lshrrev_b32_e32 v79, 16, v6
	v_fma_f16 v84, v138, 0x39e9, -v77
	v_mul_f16_e32 v80, 0xbbf7, v33
	v_add_f16_e32 v78, v78, v6
	v_fma_f16 v88, v138, 0x3722, -v86
	v_fmamk_f16 v89, v71, 0x39e9, v68
	v_mul_f16_e32 v87, 0xba62, v33
	v_add_f16_e32 v84, v84, v79
	v_fma_f16 v92, v67, 0x2de8, -v80
	v_mul_f16_e32 v94, 0xbbf7, v14
	v_mul_f16_e32 v104, 0xbbb2, v14
	v_add_f16_e32 v88, v88, v79
	v_fma_f16 v93, v67, 0xb8d2, -v87
	v_add_f16_e32 v89, v89, v78
	v_add_f16_e32 v92, v92, v84
	v_fma_f16 v78, v138, 0x2de8, -v94
	v_mul_f16_e32 v95, 0xb1e1, v33
	v_fma_f16 v84, v138, 0xb461, -v104
	v_mul_f16_e32 v110, 0xba62, v31
	v_mul_f16_e32 v106, 0x3836, v33
	v_add_f16_e32 v88, v93, v88
	v_add_f16_e32 v31, v78, v79
	v_fma_f16 v78, v67, 0xbbdd, -v95
	v_add_f16_e32 v84, v84, v79
	v_fmamk_f16 v93, v65, 0xb8d2, v110
	v_mul_f16_e32 v111, 0x3bb2, v32
	v_fma_f16 v32, v67, 0xbacd, -v106
	v_mul_f16_e32 v126, 0xba62, v14
	v_add_f16_e32 v31, v78, v31
	v_add_f16_e32 v78, v93, v6
	v_fmamk_f16 v93, v71, 0xb461, v111
	v_add_f16_e32 v32, v32, v84
	v_fma_f16 v84, v138, 0xb8d2, -v126
	v_mul_f16_e64 v128, 0x3bb2, v33
	v_mul_f16_e64 v144, 0xb836, v14
	;; [unrolled: 1-line block ×3, first 2 shown]
	v_add_f16_e32 v93, v93, v78
	v_add_f16_e32 v78, v84, v79
	v_fma_f16 v84, v67, 0xb461, -v128
	v_fma_f16 v96, v138, 0xbacd, -v144
	v_mul_f16_e64 v145, 0x3b29, v33
	v_fma_f16 v98, v138, 0xbbdd, -v155
	v_mul_f16_e64 v156, 0x35c8, v33
	v_add_f16_e32 v99, v84, v78
	v_add_f16_e32 v100, v96, v79
	v_fma_f16 v102, v67, 0x3722, -v145
	v_add_f16_e32 v98, v98, v79
	v_fma_f16 v103, v67, 0x3b76, -v156
	v_mul_f16_e32 v78, 0xbb29, v82
	v_lshrrev_b32_e32 v135, 16, v69
	v_mul_f16_e32 v84, 0xba62, v37
	v_mul_f16_e32 v96, 0x31e1, v37
	v_add_f16_e32 v100, v102, v100
	v_add_f16_e32 v98, v103, v98
	v_fmamk_f16 v102, v69, 0x3722, v78
	v_fma_f16 v105, v135, 0xb8d2, -v84
	v_mul_f16_e32 v103, 0x3bb2, v37
	v_mul_f16_e32 v114, 0x3964, v37
	v_fma_f16 v107, v135, 0xbbdd, -v96
	v_add_f16_e32 v102, v102, v89
	v_add_f16_e32 v92, v105, v92
	v_fma_f16 v89, v135, 0xb461, -v103
	v_fma_f16 v105, v135, 0x39e9, -v114
	v_mul_f16_e32 v124, 0xb5c8, v82
	v_mul_f16_e64 v132, 0xb5c8, v37
	v_mul_f16_e64 v150, 0xbbf7, v37
	v_add_f16_e32 v88, v107, v88
	v_add_f16_e32 v31, v89, v31
	;; [unrolled: 1-line block ×3, first 2 shown]
	v_fmamk_f16 v89, v69, 0x3b76, v124
	v_fma_f16 v105, v135, 0x3b76, -v132
	v_fma_f16 v107, v135, 0x2de8, -v150
	v_mul_f16_e64 v159, 0xb836, v37
	v_mul_f16_e32 v82, 0xbbf7, v34
	v_add_f16_e32 v93, v89, v93
	v_add_f16_e32 v99, v105, v99
	;; [unrolled: 1-line block ×3, first 2 shown]
	v_fma_f16 v108, v135, 0xbacd, -v159
	v_fmamk_f16 v109, v70, 0x2de8, v82
	v_lshrrev_b32_e32 v136, 16, v70
	v_mul_f16_e32 v89, 0xb1e1, v40
	v_mul_f16_e32 v100, 0x3bb2, v40
	;; [unrolled: 1-line block ×3, first 2 shown]
	v_add_f16_e32 v98, v108, v98
	v_add_f16_e32 v102, v109, v102
	v_fma_f16 v108, v136, 0xbbdd, -v89
	v_fma_f16 v109, v136, 0xb461, -v100
	v_mul_f16_e32 v117, 0xbb29, v40
	v_mul_f16_e64 v130, 0xb836, v34
	v_fma_f16 v112, v136, 0x3b76, -v107
	v_add_f16_e32 v34, v108, v92
	v_add_f16_e32 v92, v109, v88
	v_fma_f16 v88, v136, 0x3722, -v117
	v_fma_f16 v108, 0xbacd, v70, v130
	v_mul_f16_e64 v140, 0xb836, v40
	v_mul_f16_e64 v154, 0x3a62, v40
	;; [unrolled: 1-line block ×3, first 2 shown]
	v_add_f16_e32 v31, v112, v31
	v_add_f16_e32 v32, v88, v32
	v_add_f16_e32 v108, v108, v93
	v_fma_f16 v109, v136, 0xbacd, -v140
	v_fma_f16 v112, v136, 0xb8d2, -v154
	;; [unrolled: 1-line block ×3, first 2 shown]
	v_mul_f16_e32 v88, 0xbbb2, v35
	v_lshrrev_b32_e32 v143, 16, v74
	v_mul_f16_e32 v93, 0x3836, v118
	v_add_f16_e32 v99, v109, v99
	v_add_f16_e32 v112, v112, v105
	;; [unrolled: 1-line block ×3, first 2 shown]
	v_fmamk_f16 v98, v74, 0xb461, v88
	v_fma_f16 v109, v143, 0xbacd, -v93
	v_mul_f16_e32 v105, 0x3964, v118
	v_mul_f16_e32 v113, 0xbb29, v118
	;; [unrolled: 1-line block ×3, first 2 shown]
	v_add_f16_e32 v102, v98, v102
	v_add_f16_e32 v34, v109, v34
	v_fma_f16 v98, v143, 0x39e9, -v105
	v_fma_f16 v109, v143, 0x3722, -v113
	v_mul_f16_e64 v133, 0x3bf7, v35
	v_mul_f16_e64 v148, 0x3bf7, v118
	v_fma_f16 v116, v143, 0xbbdd, -v127
	v_add_f16_e32 v35, v98, v92
	v_add_f16_e32 v31, v109, v31
	v_fma_f16 v98, 0x2de8, v74, v133
	v_fma_f16 v109, v143, 0x2de8, -v148
	v_mul_f16_e64 v158, 0xb5c8, v118
	v_mul_f16_e64 v165, 0xba62, v118
	v_mul_f16_e32 v92, 0xba62, v97
	v_add_f16_e32 v32, v116, v32
	v_add_f16_e32 v108, v98, v108
	;; [unrolled: 1-line block ×3, first 2 shown]
	v_fma_f16 v99, v143, 0x3b76, -v158
	v_fma_f16 v121, v143, 0xb8d2, -v165
	v_fmamk_f16 v122, v76, 0xb8d2, v92
	v_lshrrev_b32_e32 v146, 16, v76
	v_mul_f16_e32 v98, 0x3bb2, v120
	v_mul_f16_e32 v109, 0xb5c8, v120
	v_add_f16_e32 v112, v99, v112
	v_add_f16_e32 v121, v121, v115
	;; [unrolled: 1-line block ×3, first 2 shown]
	v_fma_f16 v99, v146, 0xb461, -v98
	v_fma_f16 v122, v146, 0x3b76, -v109
	v_mul_f16_e32 v115, 0xb836, v120
	v_mul_f16_e64 v131, 0x3bf7, v120
	v_mul_f16_e64 v141, 0xb964, v97
	v_add_f16_e32 v34, v99, v34
	v_add_f16_e32 v35, v122, v35
	v_fma_f16 v97, v146, 0xbacd, -v115
	v_fma_f16 v99, v146, 0x2de8, -v131
	v_fma_f16 v122, 0x39e9, v76, v141
	v_mul_f16_e64 v153, 0xb964, v120
	v_mul_f16_e64 v160, 0xb1e1, v120
	;; [unrolled: 1-line block ×3, first 2 shown]
	v_add_f16_e32 v31, v97, v31
	v_add_f16_e32 v32, v99, v32
	v_add_f16_e32 v122, v122, v108
	v_fma_f16 v108, v146, 0x39e9, -v153
	v_fma_f16 v125, v146, 0xbbdd, -v160
	v_mul_f16_e32 v97, 0xb836, v101
	v_lshrrev_b32_e32 v149, 16, v91
	v_mul_f16_e64 v99, 0x3b29, v134
	v_fma_f16 v129, v146, 0x3722, -v166
	v_add_f16_e32 v116, v108, v116
	v_add_f16_e32 v112, v125, v112
	v_fmamk_f16 v125, v91, 0xbacd, v97
	v_fma_f16 v137, v149, 0x3722, -v99
	v_mul_f16_e64 v108, 0xbbf7, v134
	v_add_f16_e64 v121, v129, v121
	v_mul_f16_e64 v129, 0x3a62, v134
	v_add_f16_e32 v125, v125, v102
	v_add_f16_e64 v34, v137, v34
	v_fma_f16 v102, v149, 0x2de8, -v108
	v_mul_f16_e64 v139, 0xb5c8, v134
	v_fma_f16 v137, v149, 0xb8d2, -v129
	v_mul_f16_e64 v147, 0xb1e1, v101
	v_mul_f16_e64 v157, 0xb1e1, v134
	v_add_f16_e32 v35, v102, v35
	v_fma_f16 v101, v149, 0x3b76, -v139
	v_add_f16_e64 v162, v137, v31
	v_fma_f16 v31, 0xbbdd, v91, v147
	v_fma_f16 v102, v149, 0xbbdd, -v157
	v_mul_f16_e64 v164, 0x3964, v134
	v_mul_f16_e64 v168, 0xbbb2, v134
	v_add_f16_e64 v167, v101, v32
	v_add_f16_e64 v180, v31, v122
	v_add_f16_e32 v122, v102, v116
	v_fma_f16 v31, v149, 0x39e9, -v164
	v_fma_f16 v32, v149, 0xb461, -v168
	v_lshrrev_b32_e32 v152, 16, v90
	v_mul_f16_e64 v102, 0x35c8, v178
	v_pk_mul_f16 v169, 0xb836b1e1, v14 op_sel:[0,1]
	v_add_f16_e64 v181, v31, v112
	v_mul_f16_e64 v112, 0xb836, v178
	v_add_f16_e64 v182, v32, v121
	v_fma_f16 v32, v152, 0x3b76, -v102
	v_mul_f16_e64 v101, 0xb1e1, v161
	v_mul_f16_e64 v137, 0x3964, v178
	v_fma_f16 v116, v152, 0xbacd, -v112
	v_pk_mul_f16 v170, 0x3b2935c8, v33 op_sel:[0,1]
	v_add_f16_e32 v32, v32, v34
	v_pk_fma_f16 v34, 0xbacdbbdd, v65, v169 op_sel_hi:[1,0,1]
	v_fmamk_f16 v31, v90, 0xbbdd, v101
	v_add_f16_e32 v33, v116, v35
	v_fma_f16 v35, v152, 0x39e9, -v137
	v_mul_f16_e64 v151, 0xba62, v178
	v_pk_add_f16 v116, v34, v6 op_sel_hi:[1,0]
	v_pk_fma_f16 v121, 0x37223b76, v67, v170 op_sel:[0,1,0]
	v_pk_mul_f16 v171, 0xbbf7b836, v37 op_sel:[0,1]
	v_add_f16_e32 v31, v31, v125
	v_add_f16_e64 v34, v35, v162
	v_fma_f16 v35, v152, 0xb8d2, -v151
	v_pk_add_f16 v121, v121, v116
	v_pk_fma_f16 v125, 0x2de8bacd, v69, v171 op_sel_hi:[1,0,1]
	v_pk_fma_f16 v116, 0xb964b5c8, v14, v36 op_sel:[0,0,1] op_sel_hi:[1,1,0] neg_lo:[0,1,0] neg_hi:[0,1,0]
	v_mul_f16_e64 v162, 0x3b29, v178
	v_add_f16_e64 v35, v35, v167
	v_pk_mul_f16 v172, 0x3a623964, v40 op_sel:[0,1]
	v_pk_add_f16 v167, v125, v121
	v_pk_fma_f16 v125, 0x2de839e9, v67, v30 neg_lo:[0,0,1] neg_hi:[0,0,1]
	v_add_f16_e32 v30, v116, v79
	v_fma_f16 v14, v152, 0x3722, -v162
	v_pk_fma_f16 v121, 0xba62bb29, v37, v39 op_sel:[0,0,1] op_sel_hi:[1,1,0] neg_lo:[0,1,0] neg_hi:[0,1,0]
	v_pk_fma_f16 v174, 0xb8d239e9, v70, v172 op_sel_hi:[1,0,1]
	v_pk_mul_f16 v173, 0xb5c8ba62, v118 op_sel:[0,1]
	v_add_f16_e32 v30, v125, v30
	v_add_f16_e32 v36, v14, v122
	v_pk_fma_f16 v122, 0xb1e1bbf7, v40, v41 op_sel:[0,0,1] op_sel_hi:[1,1,0] neg_lo:[0,1,0] neg_hi:[0,1,0]
	v_pk_add_f16 v14, v174, v167
	v_pk_fma_f16 v37, 0x3b76b8d2, v74, v173 op_sel_hi:[1,0,1]
	v_add_f16_e32 v30, v121, v30
	v_pk_mul_f16 v174, 0xb1e13b29, v120 op_sel:[0,1]
	v_pk_fma_f16 v119, 0x3836bbb2, v118, v119 op_sel:[0,0,1] op_sel_hi:[1,1,0] neg_lo:[0,1,0] neg_hi:[0,1,0]
	v_pk_mul_f16 v175, 0x3964bbb2, v134 op_sel:[0,1]
	v_pk_add_f16 v14, v37, v14
	v_add_f16_e32 v30, v122, v30
	v_pk_fma_f16 v37, 0xbbdd3722, v76, v174 op_sel_hi:[1,0,1]
	v_pk_fma_f16 v120, 0x3bb2ba62, v120, v123 op_sel:[0,0,1] op_sel_hi:[1,1,0] neg_lo:[0,1,0] neg_hi:[0,1,0]
	v_mul_f16_e64 v167, 0xbbb2, v178
	v_pk_fma_f16 v118, 0x3b29b836, v134, v142 op_sel:[0,0,1] op_sel_hi:[1,1,0] neg_lo:[0,1,0] neg_hi:[0,1,0]
	v_add_f16_e32 v30, v119, v30
	v_pk_add_f16 v14, v37, v14
	v_pk_fma_f16 v37, 0x39e9b461, v91, v175 op_sel_hi:[1,0,1]
	v_pk_mul_f16 v176, 0xbbb23bf7, v178 op_sel:[0,1]
	v_mul_f16_e64 v177, 0x3bf7, v178
	v_add_f16_e32 v30, v120, v30
	v_mul_f16_e64 v161, 0x3b29, v161
	v_fma_f16 v39, v152, 0xb461, -v167
	v_pk_add_f16 v14, v37, v14
	v_pk_fma_f16 v37, 0xb4612de8, v90, v176 op_sel_hi:[1,0,1]
	v_pk_fma_f16 v123, 0x35c8b1e1, v178, v179 op_sel:[0,0,1] op_sel_hi:[1,1,0] neg_lo:[0,1,0] neg_hi:[0,1,0]
	v_fma_f16 v40, v152, 0x2de8, -v177
	v_add_f16_e32 v30, v118, v30
	v_fma_f16 v134, 0x3722, v90, v161
	v_add_f16_e64 v39, v39, v181
	v_pk_add_f16 v41, v37, v14
	v_add_f16_e64 v40, v40, v182
	v_add_f16_e32 v37, v123, v30
	v_add_f16_e64 v14, v134, v180
	v_mul_lo_u16 v30, v28, 17
	global_wb scope:SCOPE_SE
	s_barrier_signal -1
	s_barrier_wait -1
	global_inv scope:SCOPE_SE
	s_and_saveexec_b32 s4, vcc_lo
	s_cbranch_execz .LBB0_7
; %bb.6:
	v_mul_f16_e64 v178, 0xbbdd, v138
	v_mul_f16_e64 v180, 0x3b76, v67
	;; [unrolled: 1-line block ×5, first 2 shown]
	v_add_f16_e64 v155, v155, v178
	v_add_f16_e64 v156, v156, v180
	;; [unrolled: 1-line block ×6, first 2 shown]
	v_mul_f16_e64 v142, 0x3b76, v65
	v_mul_f16_e64 v179, 0x39e9, v138
	;; [unrolled: 1-line block ×4, first 2 shown]
	v_add_f16_e64 v155, v156, v155
	v_mul_f16_e64 v180, 0x2de8, v65
	v_mul_f16_e64 v183, 0x2de8, v138
	;; [unrolled: 1-line block ×4, first 2 shown]
	v_add_f16_e64 v155, v159, v155
	v_mul_f16_e64 v159, 0xb8d2, v65
	v_mul_f16_e64 v184, 0xb8d2, v138
	;; [unrolled: 1-line block ×3, first 2 shown]
	v_pk_mul_f16 v65, 0xbacdbbdd, v65 op_sel_hi:[1,0]
	v_add_f16_e64 v155, v163, v155
	v_mul_f16_e64 v163, 0x3722, v146
	v_mul_f16_e64 v186, 0x2de8, v67
	;; [unrolled: 1-line block ×4, first 2 shown]
	v_add_f16_e64 v155, v165, v155
	v_add_f16_e64 v163, v166, v163
	v_mul_f16_e64 v165, 0xb461, v149
	v_add_f16_e64 v138, v144, v138
	v_pk_add_f16 v65, v65, v169 neg_lo:[0,1] neg_hi:[0,1]
	v_pk_mul_f16 v169, 0x2de8bacd, v69 op_sel_hi:[1,0]
	v_add_f16_e64 v155, v163, v155
	v_add_f16_e64 v163, v168, v165
	v_mul_f16_e64 v165, 0x2de8, v152
	v_mul_f16_e64 v168, 0xbbdd, v67
	v_add_f16_e64 v138, v138, v79
	v_pk_add_f16 v169, v169, v171 neg_lo:[0,1] neg_hi:[0,1]
	v_add_f16_e64 v155, v163, v155
	v_add_f16_e64 v163, v177, v165
	v_mul_f16_e64 v165, 0xb461, v67
	v_mul_f16_e64 v177, 0x3722, v67
	v_pk_mul_f16 v67, 0x37223b76, v67 op_sel:[0,1]
	v_pk_mul_f16 v171, 0xb8d239e9, v70 op_sel_hi:[1,0]
	v_alignbit_b32 v134, v6, v6, 16
	v_add_f16_e64 v126, v126, v184
	v_add_f16_e64 v145, v145, v177
	v_pk_add_f16 v67, v67, v170 neg_lo:[0,1] neg_hi:[0,1]
	v_mul_f16_e64 v170, 0x2de8, v135
	v_pk_add_f16 v171, v171, v172 neg_lo:[0,1] neg_hi:[0,1]
	v_mul_f16_e64 v172, 0xb8d2, v136
	v_add_f16_e64 v138, v145, v138
	v_pk_mul_f16 v145, 0x3b76b8d2, v74 op_sel_hi:[1,0]
	v_add_f16_e64 v150, v150, v170
	v_mul_f16_e64 v144, 0xb8d2, v135
	v_add_f16_e64 v154, v154, v172
	v_mul_f16_e64 v172, 0x3b76, v143
	v_pk_add_f16 v145, v145, v173 neg_lo:[0,1] neg_hi:[0,1]
	v_pk_mul_f16 v173, 0xbbdd3722, v76 op_sel_hi:[1,0]
	v_add_f16_e64 v138, v150, v138
	v_mul_f16_e64 v170, 0xbbdd, v135
	v_add_f16_e64 v158, v158, v172
	v_pk_mul_f16 v150, 0x39e9b461, v91 op_sel_hi:[1,0]
	v_pk_add_f16 v173, v173, v174 neg_lo:[0,1] neg_hi:[0,1]
	v_pk_mul_f16 v174, 0xb4612de8, v90 op_sel_hi:[1,0]
	v_add_f16_e64 v138, v154, v138
	v_lshrrev_b32_e32 v154, 16, v134
	v_add_f16_e64 v128, v128, v165
	v_add_f16_e32 v126, v126, v79
	v_pk_add_f16 v172, v174, v176 neg_lo:[0,1] neg_hi:[0,1]
	v_lshrrev_b32_e32 v174, 16, v65
	v_add_f16_e64 v65, v65, v154
	v_add_f16_e64 v138, v158, v138
	v_mul_f16_e64 v158, 0xbbdd, v146
	v_mul_f16_e64 v176, 0xb461, v135
	v_add_f16_e64 v154, v174, v154
	v_add_f16_e32 v65, v67, v65
	v_lshrrev_b32_e32 v67, 16, v67
	v_add_f16_e64 v158, v160, v158
	v_mul_f16_e64 v160, 0x39e9, v135
	v_mul_f16_e64 v135, 0x3b76, v135
	v_add_f16_e64 v65, v169, v65
	v_add_f16_e64 v67, v67, v154
	v_lshrrev_b32_e32 v169, 16, v169
	v_mul_f16_e64 v154, 0x39e9, v149
	v_add_f16_e64 v138, v158, v138
	v_add_f16_e64 v65, v171, v65
	v_lshrrev_b32_e32 v171, 16, v171
	v_add_f16_e64 v67, v169, v67
	v_add_f16_e64 v154, v164, v154
	v_pk_add_f16 v150, v150, v175 neg_lo:[0,1] neg_hi:[0,1]
	v_add_f16_e64 v65, v145, v65
	v_lshrrev_b32_e32 v145, 16, v145
	v_add_f16_e64 v67, v171, v67
	v_mul_f16_e64 v164, 0xbbdd, v136
	v_mul_f16_e64 v184, 0xb461, v136
	v_add_f16_e64 v138, v154, v138
	v_mul_f16_e64 v154, 0x3b76, v136
	v_add_f16_e64 v126, v128, v126
	;; [unrolled: 2-line block ×4, first 2 shown]
	v_add_f16_e64 v65, v173, v65
	v_lshrrev_b32_e32 v173, 16, v173
	v_mul_f16_e64 v185, 0x39e9, v71
	v_mul_f16_e64 v166, 0xb8d2, v71
	;; [unrolled: 1-line block ×4, first 2 shown]
	v_mul_f16_e32 v71, 0xb461, v71
	v_add_f16_e64 v126, v132, v126
	v_add_f16_e64 v136, v140, v136
	;; [unrolled: 1-line block ×3, first 2 shown]
	v_mul_f16_e64 v173, 0x2de8, v143
	v_add_f16_e64 v65, v150, v65
	v_lshrrev_b32_e32 v150, 16, v150
	v_sub_f16_e64 v110, v159, v110
	v_add_f16_e64 v155, v163, v155
	v_mul_f16_e64 v163, 0x3722, v69
	v_mul_f16_e64 v177, 0xbbdd, v69
	;; [unrolled: 1-line block ×4, first 2 shown]
	v_mul_f16_e32 v69, 0x3b76, v69
	v_mul_f16_e64 v135, 0xb461, v152
	v_add_f16_e64 v126, v136, v126
	v_add_f16_e64 v148, v148, v173
	;; [unrolled: 1-line block ×3, first 2 shown]
	v_mul_f16_e64 v150, 0x39e9, v146
	v_sub_f16_e32 v71, v71, v111
	v_add_f16_e32 v110, v110, v6
	v_mul_f16_e64 v158, 0x2de8, v70
	v_mul_f16_e64 v169, 0xb461, v70
	;; [unrolled: 1-line block ×4, first 2 shown]
	v_mul_f16_e32 v70, 0xbacd, v70
	v_add_f16_e64 v135, v167, v135
	v_add_f16_e64 v126, v148, v126
	;; [unrolled: 1-line block ×3, first 2 shown]
	v_mul_f16_e64 v153, 0xbbdd, v149
	v_add_f16_e32 v71, v71, v110
	v_sub_f16_e32 v69, v69, v124
	v_add_f16_e64 v104, v104, v182
	v_mul_f16_e64 v167, 0xb461, v74
	v_mul_f16_e64 v132, 0x39e9, v74
	v_add_f16_e64 v135, v135, v138
	v_mul_f16_e64 v138, 0x3722, v74
	v_mul_f16_e64 v173, 0xbbdd, v74
	v_mul_f16_e32 v74, 0x2de8, v74
	v_add_f16_e64 v126, v150, v126
	v_add_f16_e64 v153, v157, v153
	v_add_f16_e32 v69, v69, v71
	v_sub_f16_e64 v70, v70, v130
	v_add_f16_e64 v106, v106, v190
	v_add_f16_e32 v104, v104, v79
	v_mul_f16_e64 v148, 0xb8d2, v76
	v_mul_f16_e32 v111, 0x3b76, v76
	v_mul_f16_e64 v157, 0xbacd, v76
	v_mul_f16_e32 v124, 0x2de8, v76
	v_mul_f16_e32 v76, 0x39e9, v76
	v_add_f16_e64 v126, v153, v126
	v_mul_f16_e64 v153, 0x3722, v152
	v_add_f16_e32 v69, v70, v69
	v_sub_f16_e64 v74, v74, v133
	v_add_f16_e32 v104, v106, v104
	v_add_f16_e64 v114, v114, v160
	v_sub_f16_e64 v50, v156, v50
	v_mul_f16_e64 v145, 0xbacd, v143
	v_mul_f16_e64 v140, 0x39e9, v143
	;; [unrolled: 1-line block ×4, first 2 shown]
	v_mul_f16_e32 v71, 0xbacd, v91
	v_add_f16_e64 v153, v162, v153
	v_mul_f16_e64 v162, 0x2de8, v91
	v_mul_f16_e32 v70, 0xb8d2, v91
	v_mul_f16_e64 v133, 0x3b76, v91
	v_mul_f16_e32 v91, 0xbbdd, v91
	v_add_f16_e32 v69, v74, v69
	v_sub_f16_e64 v76, v76, v141
	v_add_f16_e32 v104, v114, v104
	v_add_f16_e64 v117, v117, v128
	v_add_f16_e32 v50, v50, v6
	v_sub_f16_e64 v52, v189, v52
	v_mul_f16_e64 v159, 0xb461, v146
	v_mul_f16_e64 v150, 0x3b76, v146
	;; [unrolled: 1-line block ×4, first 2 shown]
	v_mul_f16_e32 v106, 0xbbdd, v90
	v_mul_f16_e32 v74, 0xbacd, v90
	;; [unrolled: 1-line block ×3, first 2 shown]
	v_mul_f16_e64 v156, 0xb8d2, v90
	v_mul_f16_e32 v90, 0x3722, v90
	v_add_f16_e32 v69, v76, v69
	v_sub_f16_e64 v76, v91, v147
	v_add_f16_e32 v91, v117, v104
	v_add_f16_e64 v104, v127, v143
	v_add_f16_e32 v50, v52, v50
	v_sub_f16_e64 v52, v174, v57
	v_mul_f16_e64 v130, 0x3722, v149
	v_mul_f16_e64 v182, 0x2de8, v149
	;; [unrolled: 1-line block ×4, first 2 shown]
	v_add_f16_e32 v69, v76, v69
	v_add_f16_e32 v76, v104, v91
	v_add_f16_e64 v91, v131, v146
	v_add_f16_e32 v50, v52, v50
	v_sub_f16_e64 v52, v171, v61
	v_sub_f16_e64 v61, v90, v161
	v_add_f16_e64 v90, v94, v183
	v_add_f16_e32 v76, v91, v76
	v_add_f16_e64 v91, v139, v149
	v_add_f16_e32 v50, v52, v50
	v_sub_f16_e64 v52, v173, v66
	v_add_f16_e32 v66, v90, v79
	v_add_f16_e64 v90, v95, v168
	v_add_f16_e32 v61, v61, v69
	v_add_f16_e32 v69, v91, v76
	;; [unrolled: 1-line block ×3, first 2 shown]
	v_sub_f16_e32 v52, v124, v81
	v_add_f16_e32 v66, v90, v66
	v_add_f16_e64 v76, v103, v176
	v_sub_f16_e64 v45, v180, v45
	v_sub_f16_e64 v46, v188, v46
	v_add_f16_e32 v50, v52, v50
	v_sub_f16_e64 v52, v133, v83
	v_add_f16_e32 v66, v76, v66
	v_add_f16_e64 v76, v107, v154
	v_add_f16_e32 v45, v45, v6
	v_alignbit_b32 v62, v62, v62, 16
	v_add_f16_e32 v50, v52, v50
	v_pk_add_f16 v7, v7, v134 op_sel:[0,1] op_sel_hi:[1,0]
	v_add_f16_e32 v52, v76, v66
	v_add_f16_e64 v66, v113, v136
	v_add_f16_e32 v45, v46, v45
	v_sub_f16_e64 v46, v175, v53
	v_add_f16_e64 v76, v86, v181
	v_pk_add_f16 v7, v62, v7
	v_add_f16_e32 v52, v66, v52
	v_add_f16_e32 v66, v115, v110
	;; [unrolled: 1-line block ×3, first 2 shown]
	v_sub_f16_e64 v46, v165, v55
	v_add_f16_e32 v55, v76, v79
	v_add_f16_e64 v76, v87, v187
	v_mul_f16_e64 v128, 0x39e9, v152
	v_sub_f16_e64 v53, v156, v85
	v_add_f16_e32 v52, v66, v52
	v_add_f16_e64 v66, v129, v190
	v_add_f16_e32 v45, v46, v45
	v_sub_f16_e64 v46, v138, v60
	v_add_f16_e32 v55, v76, v55
	v_add_f16_e64 v60, v96, v170
	v_sub_f16_e64 v42, v178, v42
	v_pk_add_f16 v7, v13, v7
	v_add_f16_e32 v50, v53, v50
	v_add_f16_e32 v52, v66, v52
	;; [unrolled: 1-line block ×3, first 2 shown]
	v_add_f16_e64 v60, v137, v128
	v_add_f16_e32 v42, v42, v6
	v_sub_f16_e64 v44, v166, v44
	v_pk_add_f16 v7, v19, v7
	v_add_f16_e32 v45, v46, v45
	v_sub_f16_e64 v46, v157, v72
	v_add_f16_e64 v55, v100, v184
	v_add_f16_e32 v42, v44, v42
	v_sub_f16_e64 v44, v177, v48
	v_add_f16_e32 v48, v60, v52
	v_add_f16_e64 v52, v77, v179
	v_pk_add_f16 v7, v20, v7
	v_sub_f16_e64 v20, v142, v24
	v_add_f16_e32 v42, v44, v42
	v_sub_f16_e64 v44, v169, v49
	v_add_f16_e32 v49, v52, v79
	v_add_f16_e64 v52, v80, v186
	v_pk_add_f16 v7, v17, v7
	v_add_f16_e32 v6, v20, v6
	v_add_f16_e32 v42, v44, v42
	v_sub_f16_e64 v44, v132, v51
	v_add_f16_e32 v49, v52, v49
	v_add_f16_e64 v51, v84, v144
	v_pk_add_f16 v7, v18, v7
	v_bfi_b32 v18, 0xffff, v22, v116
	v_add_f16_e32 v42, v44, v42
	v_sub_f16_e32 v44, v111, v54
	v_add_f16_e32 v13, v51, v49
	v_add_f16_e64 v49, v89, v164
	v_pk_add_f16 v7, v15, v7
	v_sub_f16_e64 v17, v185, v68
	v_add_f16_e32 v42, v44, v42
	v_add_f16_e64 v44, v93, v145
	v_add_f16_e32 v13, v49, v13
	v_bfi_b32 v22, 0xffff, v23, v125
	v_pk_add_f16 v15, v18, v134
	v_pk_add_f16 v7, v16, v7
	v_add_f16_e64 v24, v98, v159
	v_add_f16_e32 v13, v44, v13
	v_add_f16_e32 v6, v17, v6
	v_sub_f16_e64 v17, v163, v78
	v_bfi_b32 v18, 0xffff, v38, v121
	v_pk_add_f16 v15, v22, v15
	v_pk_add_f16 v4, v4, v7
	v_add_f16_e32 v13, v24, v13
	v_add_f16_e32 v6, v17, v6
	v_sub_f16_e64 v17, v158, v82
	v_add_f16_e64 v16, v99, v130
	v_bfi_b32 v22, 0xffff, v43, v122
	v_pk_add_f16 v7, v18, v15
	v_pk_add_f16 v4, v5, v4
	v_add_f16_e32 v6, v17, v6
	v_sub_f16_e64 v15, v167, v88
	v_add_f16_e32 v13, v16, v13
	v_bfi_b32 v16, 0xffff, v47, v119
	v_pk_add_f16 v5, v22, v7
	v_add_f16_e32 v45, v46, v45
	v_sub_f16_e32 v46, v70, v73
	v_add_f16_e32 v53, v55, v53
	v_add_f16_e64 v55, v105, v140
	v_pk_add_f16 v2, v2, v4
	v_add_f16_e32 v6, v15, v6
	v_sub_f16_e64 v7, v148, v92
	v_bfi_b32 v15, 0xffff, v56, v120
	v_pk_add_f16 v4, v16, v5
	v_add_f16_e32 v45, v46, v45
	v_sub_f16_e32 v46, v114, v75
	v_add_f16_e32 v53, v55, v53
	v_add_f16_e64 v55, v109, v150
	v_pk_add_f16 v2, v3, v2
	v_mul_f16_e64 v160, 0x3b76, v152
	v_bfi_b32 v5, 0xffff, v58, v118
	v_add_f16_e32 v6, v7, v6
	v_sub_f16_e32 v7, v71, v97
	v_pk_add_f16 v3, v15, v4
	v_mul_f16_e64 v141, 0xbacd, v152
	v_add_f16_e32 v45, v46, v45
	v_add_f16_e32 v46, v55, v53
	v_add_f16_e64 v53, v108, v182
	v_sub_f16_e64 v19, v162, v63
	v_mul_f16_e64 v152, 0xb8d2, v152
	v_pk_add_f16 v0, v0, v2
	v_add_f16_e64 v4, v102, v160
	v_bfi_b32 v15, 0xffff, v59, v123
	v_add_f16_e32 v6, v7, v6
	v_pk_add_f16 v2, v5, v3
	v_sub_f16_e32 v3, v106, v101
	v_add_f16_e32 v46, v53, v46
	v_add_f16_e64 v51, v112, v141
	v_add_f16_e32 v19, v19, v42
	v_sub_f16_e32 v20, v74, v64
	v_add_f16_e64 v81, v151, v152
	v_add_f16_e64 v65, v172, v65
	v_lshrrev_b32_e32 v172, 16, v172
	v_and_b32_e32 v5, 0xffff, v30
	v_pk_add_f16 v0, v1, v0
	v_add_f16_e32 v4, v4, v13
	v_pk_add_f16 v1, v15, v2
	v_add_f16_e32 v2, v3, v6
	v_add_f16_e32 v46, v51, v46
	;; [unrolled: 1-line block ×3, first 2 shown]
	v_add_f16_e64 v57, v153, v126
	v_add_f16_e32 v69, v81, v69
	v_add_lshl_u32 v5, v27, v5, 2
	v_pk_add_f16 v0, v21, v0
	v_add_f16_e64 v13, v172, v67
	v_alignbit_b32 v4, v4, v1, 16
	v_pack_b32_f16 v1, v2, v1
	v_pack_b32_f16 v2, v45, v48
	;; [unrolled: 1-line block ×5, first 2 shown]
	ds_store_b32 v5, v0
	ds_store_2addr_b32 v5, v1, v4 offset0:1 offset1:2
	ds_store_2addr_b32 v5, v3, v2 offset0:3 offset1:4
	;; [unrolled: 1-line block ×3, first 2 shown]
	v_pack_b32_f16 v0, v65, v155
	v_pack_b32_f16 v1, v13, v135
	v_perm_b32 v2, v40, v41, 0x5040100
	v_alignbit_b32 v3, v39, v41, 16
	v_perm_b32 v4, v35, v11, 0x5040100
	v_perm_b32 v6, v36, v14, 0x5040100
	;; [unrolled: 1-line block ×6, first 2 shown]
	ds_store_2addr_b32 v5, v1, v0 offset0:7 offset1:8
	ds_store_2addr_b32 v5, v2, v3 offset0:9 offset1:10
	ds_store_2addr_b32 v5, v6, v4 offset0:11 offset1:12
	ds_store_2addr_b32 v5, v13, v7 offset0:13 offset1:14
	ds_store_2addr_b32 v5, v16, v15 offset0:15 offset1:16
.LBB0_7:
	s_wait_alu 0xfffe
	s_or_b32 exec_lo, exec_lo, s4
	v_lshlrev_b32_e32 v4, 5, v28
	s_load_b128 s[4:7], s[2:3], 0x0
	global_wb scope:SCOPE_SE
	s_wait_dscnt 0x0
	s_wait_kmcnt 0x0
	s_barrier_signal -1
	s_barrier_wait -1
	global_inv scope:SCOPE_SE
	s_clause 0x1
	global_load_b128 v[0:3], v4, s[0:1]
	global_load_b128 v[4:7], v4, s[0:1] offset:16
	v_add_lshl_u32 v42, v27, v28, 2
	ds_load_2addr_b32 v[18:19], v42 offset1:17
	ds_load_2addr_b32 v[15:16], v42 offset0:34 offset1:51
	ds_load_2addr_b32 v[20:21], v42 offset0:68 offset1:85
	;; [unrolled: 1-line block ×3, first 2 shown]
	ds_load_b32 v13, v42 offset:544
	v_lshl_add_u32 v38, v28, 2, v29
	s_wait_dscnt 0x4
	v_lshrrev_b32_e32 v17, 16, v19
	s_wait_dscnt 0x3
	v_lshrrev_b32_e32 v51, 16, v15
	;; [unrolled: 2-line block ×3, first 2 shown]
	v_lshrrev_b32_e32 v54, 16, v21
	s_wait_dscnt 0x1
	v_lshrrev_b32_e32 v55, 16, v22
	v_lshrrev_b32_e32 v56, 16, v23
	s_wait_dscnt 0x0
	v_lshrrev_b32_e32 v57, 16, v13
	v_lshrrev_b32_e32 v52, 16, v16
	;; [unrolled: 1-line block ×3, first 2 shown]
	s_wait_loadcnt 0x1
	v_lshrrev_b32_e32 v50, 16, v0
	v_lshrrev_b32_e32 v49, 16, v1
	;; [unrolled: 1-line block ×3, first 2 shown]
	s_wait_loadcnt 0x0
	v_lshrrev_b32_e32 v46, 16, v4
	v_lshrrev_b32_e32 v43, 16, v5
	;; [unrolled: 1-line block ×5, first 2 shown]
	v_mul_f16_e32 v58, v17, v50
	v_mul_f16_e32 v59, v19, v50
	;; [unrolled: 1-line block ×16, first 2 shown]
	v_fma_f16 v19, v19, v0, -v58
	v_fmac_f16_e32 v59, v17, v0
	v_fma_f16 v15, v15, v1, -v60
	v_fmac_f16_e32 v61, v51, v1
	v_fma_f16 v17, v20, v3, -v64
	v_fma_f16 v21, v21, v4, -v66
	;; [unrolled: 1-line block ×4, first 2 shown]
	v_fmac_f16_e32 v73, v57, v7
	v_fma_f16 v22, v23, v6, -v70
	v_fmac_f16_e32 v71, v56, v6
	v_fma_f16 v16, v16, v2, -v62
	v_fmac_f16_e32 v63, v52, v2
	v_fmac_f16_e32 v65, v53, v3
	;; [unrolled: 1-line block ×4, first 2 shown]
	v_add_f16_e32 v23, v19, v13
	v_add_f16_e32 v53, v59, v73
	;; [unrolled: 1-line block ×4, first 2 shown]
	v_sub_f16_e32 v13, v19, v13
	v_sub_f16_e32 v58, v17, v21
	v_add_f16_e32 v56, v16, v20
	v_add_f16_e32 v57, v63, v69
	v_sub_f16_e32 v15, v15, v22
	v_sub_f16_e32 v22, v61, v71
	v_add_f16_e32 v60, v17, v21
	v_add_f16_e32 v61, v65, v67
	v_mul_f16_e32 v64, 0x3924, v13
	v_mul_f16_e32 v68, 0xb924, v58
	v_add_f16_e32 v74, v54, v23
	v_add_f16_e32 v75, v55, v53
	v_mul_f16_e32 v76, 0x3be1, v58
	v_sub_f16_e32 v19, v59, v73
	v_sub_f16_e32 v16, v16, v20
	;; [unrolled: 1-line block ×3, first 2 shown]
	v_fmac_f16_e32 v64, 0x3be1, v15
	v_fmac_f16_e32 v68, 0x3be1, v13
	v_add_f16_e32 v78, v60, v74
	v_add_f16_e32 v79, v61, v75
	v_fma_f16 v76, v15, 0xb924, -v76
	v_add_f16_e32 v74, v56, v74
	v_add_f16_e32 v75, v57, v75
	v_sub_f16_e32 v51, v63, v69
	v_mul_f16_e32 v66, 0x3924, v19
	v_mul_f16_e32 v69, 0xb924, v59
	v_add_f16_e32 v72, v58, v13
	v_mul_f16_e32 v77, 0x3be1, v59
	v_fmac_f16_e32 v64, 0x3aee, v16
	v_fmac_f16_e32 v68, 0xbaee, v16
	;; [unrolled: 1-line block ×3, first 2 shown]
	v_add_f16_e32 v16, v17, v74
	v_add_f16_e32 v17, v65, v75
	v_fmac_f16_e32 v66, 0x3be1, v22
	v_fmac_f16_e32 v69, 0x3be1, v19
	v_sub_f16_e32 v72, v72, v15
	v_fma_f16 v77, v22, 0xb924, -v77
	v_fmac_f16_e32 v68, 0x3579, v15
	v_add_f16_e32 v15, v21, v16
	v_add_f16_e32 v16, v67, v17
	v_fmamk_f16 v62, v23, 0x3a21, v18
	v_fmamk_f16 v70, v60, 0x3a21, v18
	;; [unrolled: 1-line block ×4, first 2 shown]
	v_add_f16_e32 v20, v56, v18
	v_add_f16_e32 v52, v57, v24
	v_fmac_f16_e32 v66, 0x3aee, v51
	v_fmac_f16_e32 v69, 0xbaee, v51
	;; [unrolled: 1-line block ×3, first 2 shown]
	v_add_f16_e32 v15, v15, v18
	v_add_f16_e32 v51, v16, v24
	v_fmac_f16_e32 v18, 0x3a21, v54
	v_fmac_f16_e32 v24, 0x3a21, v55
	;; [unrolled: 1-line block ×8, first 2 shown]
	v_add_f16_e32 v73, v59, v19
	v_fmac_f16_e32 v62, -0.5, v56
	v_fmac_f16_e32 v70, -0.5, v56
	;; [unrolled: 1-line block ×6, first 2 shown]
	v_sub_f16_e32 v73, v73, v22
	v_fmac_f16_e32 v20, -0.5, v78
	v_fmac_f16_e32 v52, -0.5, v79
	v_fmac_f16_e32 v66, 0x3579, v59
	v_fmac_f16_e32 v62, 0xbb84, v60
	;; [unrolled: 1-line block ×11, first 2 shown]
	v_mul_f16_e32 v80, 0x3aee, v72
	v_mul_f16_e32 v81, 0x3aee, v73
	v_fmac_f16_e32 v20, 0x3aee, v73
	v_fmac_f16_e32 v52, 0xbaee, v72
	v_add_f16_e32 v16, v66, v62
	v_add_f16_e32 v19, v69, v70
	v_sub_f16_e32 v62, v71, v68
	v_sub_f16_e32 v63, v63, v64
	v_add_f16_e32 v23, v77, v18
	v_sub_f16_e32 v61, v24, v76
	v_fma_f16 v21, -2.0, v81, v20
	v_fma_f16 v56, 2.0, v80, v52
	v_fma_f16 v22, -2.0, v69, v19
	v_fma_f16 v57, 2.0, v68, v62
	v_fma_f16 v17, -2.0, v66, v16
	v_fma_f16 v53, 2.0, v64, v63
	v_fma_f16 v24, -2.0, v77, v23
	v_fma_f16 v60, 2.0, v76, v61
	v_pack_b32_f16 v18, v15, v51
	v_pack_b32_f16 v54, v16, v63
	v_pack_b32_f16 v13, v20, v52
	v_pack_b32_f16 v55, v19, v62
	v_pack_b32_f16 v58, v21, v56
	v_pack_b32_f16 v59, v22, v57
	v_pack_b32_f16 v64, v17, v53
	v_pack_b32_f16 v65, v23, v61
	v_pack_b32_f16 v66, v24, v60
	ds_store_2addr_b32 v38, v18, v54 offset1:17
	ds_store_2addr_b32 v38, v55, v13 offset0:34 offset1:51
	ds_store_2addr_b32 v38, v58, v59 offset0:102 offset1:119
	ds_store_b32 v38, v64 offset:544
	ds_store_2addr_b32 v38, v65, v66 offset0:68 offset1:85
	global_wb scope:SCOPE_SE
	s_wait_dscnt 0x0
	s_barrier_signal -1
	s_barrier_wait -1
	global_inv scope:SCOPE_SE
	s_and_saveexec_b32 s2, vcc_lo
	s_cbranch_execz .LBB0_9
; %bb.8:
	s_add_nc_u64 s[0:1], s[12:13], 0x264
	s_clause 0x10
	global_load_b32 v13, v26, s[12:13] offset:612
	global_load_b32 v18, v26, s[0:1] offset:36
	;; [unrolled: 1-line block ×17, first 2 shown]
	ds_load_2addr_b32 v[54:55], v38 offset1:9
	ds_load_2addr_b32 v[58:59], v38 offset0:18 offset1:27
	ds_load_2addr_b32 v[64:65], v38 offset0:36 offset1:45
	;; [unrolled: 1-line block ×7, first 2 shown]
	ds_load_b32 v91, v38 offset:576
	s_wait_dscnt 0x8
	v_lshrrev_b32_e32 v92, 16, v54
	v_lshrrev_b32_e32 v93, 16, v55
	s_wait_dscnt 0x7
	v_lshrrev_b32_e32 v94, 16, v58
	v_lshrrev_b32_e32 v95, 16, v59
	;; [unrolled: 3-line block ×8, first 2 shown]
	s_wait_dscnt 0x0
	v_lshrrev_b32_e32 v108, 16, v91
	s_wait_loadcnt 0x10
	v_lshrrev_b32_e32 v109, 16, v13
	s_wait_loadcnt 0xf
	;; [unrolled: 2-line block ×17, first 2 shown]
	v_lshrrev_b32_e32 v125, 16, v90
	v_mul_f16_e32 v126, v92, v109
	v_mul_f16_e32 v109, v54, v109
	;; [unrolled: 1-line block ×4, first 2 shown]
	v_mul_f16_e64 v128, v94, v111
	v_mul_f16_e32 v111, v58, v111
	v_mul_f16_e64 v129, v95, v112
	v_mul_f16_e32 v112, v59, v112
	;; [unrolled: 2-line block ×15, first 2 shown]
	v_fma_f16 v54, v54, v13, -v126
	v_fmac_f16_e32 v109, v92, v13
	v_fma_f16 v13, v55, v18, -v127
	v_fmac_f16_e32 v110, v93, v18
	;; [unrolled: 2-line block ×17, first 2 shown]
	v_pack_b32_f16 v54, v54, v109
	v_pack_b32_f16 v13, v13, v110
	;; [unrolled: 1-line block ×17, first 2 shown]
	ds_store_2addr_b32 v38, v54, v13 offset1:9
	ds_store_2addr_b32 v38, v18, v55 offset0:18 offset1:27
	ds_store_2addr_b32 v38, v58, v59 offset0:36 offset1:45
	;; [unrolled: 1-line block ×7, first 2 shown]
	ds_store_b32 v38, v74 offset:576
.LBB0_9:
	s_wait_alu 0xfffe
	s_or_b32 exec_lo, exec_lo, s2
	global_wb scope:SCOPE_SE
	s_wait_dscnt 0x0
	s_barrier_signal -1
	s_barrier_wait -1
	global_inv scope:SCOPE_SE
	s_and_saveexec_b32 s0, vcc_lo
	s_cbranch_execz .LBB0_11
; %bb.10:
	ds_load_2addr_b32 v[15:16], v38 offset1:9
	ds_load_2addr_b32 v[19:20], v38 offset0:18 offset1:27
	ds_load_2addr_b32 v[23:24], v38 offset0:36 offset1:45
	;; [unrolled: 1-line block ×7, first 2 shown]
	ds_load_b32 v31, v38 offset:576
	s_wait_dscnt 0x8
	v_lshrrev_b32_e32 v51, 16, v15
	v_lshrrev_b32_e32 v63, 16, v16
	s_wait_dscnt 0x7
	v_lshrrev_b32_e32 v62, 16, v19
	v_lshrrev_b32_e32 v52, 16, v20
	;; [unrolled: 3-line block ×8, first 2 shown]
	s_wait_dscnt 0x0
	v_lshrrev_b32_e32 v37, 16, v31
	v_perm_b32 v41, v13, v18, 0x5040100
.LBB0_11:
	s_wait_alu 0xfffe
	s_or_b32 exec_lo, exec_lo, s0
	global_wb scope:SCOPE_SE
	s_barrier_signal -1
	s_barrier_wait -1
	global_inv scope:SCOPE_SE
	s_and_saveexec_b32 s0, vcc_lo
	s_cbranch_execz .LBB0_13
; %bb.12:
	v_add_f16_e64 v165, v37, v63
	v_sub_f16_e32 v59, v16, v31
	v_add_f16_e64 v159, v32, v62
	v_sub_f16_e32 v58, v19, v10
	v_add_f16_e64 v153, v33, v52
	v_mul_f16_e64 v90, 0xbbdd, v165
	v_sub_f16_e32 v18, v20, v9
	v_mul_f16_e64 v91, 0x3b76, v159
	v_add_f16_e64 v149, v34, v61
	v_mul_f16_e64 v92, 0xbacd, v153
	v_fmamk_f16 v55, v59, 0x31e1, v90
	v_sub_f16_e32 v13, v23, v12
	v_fmamk_f16 v64, v58, 0xb5c8, v91
	v_add_f16_e64 v146, v35, v60
	v_mul_f16_e64 v93, 0x39e9, v149
	v_add_f16_e32 v65, v51, v55
	v_fmamk_f16 v66, v18, 0x3836, v92
	v_sub_f16_e32 v54, v24, v11
	v_add_f16_e64 v131, v36, v56
	v_sub_f16_e64 v168, v63, v37
	v_add_f16_e32 v64, v64, v65
	v_mul_f16_e64 v98, 0xb8d2, v146
	v_fmamk_f16 v65, v13, 0xb964, v93
	v_sub_f16_e32 v55, v21, v14
	v_mul_f16_e64 v96, 0x3722, v131
	v_add_f16_e32 v66, v66, v64
	v_add_f16_e32 v64, v31, v16
	v_mul_f16_e64 v94, 0xb1e1, v168
	v_fmamk_f16 v67, v54, 0x3a62, v98
	v_sub_f16_e64 v176, v62, v32
	v_add_f16_e32 v65, v65, v66
	v_add_f16_e32 v66, v10, v19
	v_fmamk_f16 v68, v55, 0xbb29, v96
	v_fmamk_f16 v69, v64, 0xbbdd, v94
	v_mul_f16_e64 v88, 0x35c8, v176
	v_add_f16_e32 v65, v67, v65
	v_sub_f16_e64 v177, v52, v33
	v_add_f16_e64 v132, v39, v57
	v_lshrrev_b32_e32 v130, 16, v41
	v_add_f16_e32 v69, v15, v69
	v_add_f16_e32 v71, v68, v65
	v_fmamk_f16 v68, v66, 0x3b76, v88
	v_add_f16_e32 v67, v9, v20
	v_mul_f16_e64 v83, 0xb836, v177
	v_sub_f16_e64 v174, v61, v34
	v_mul_f16_e64 v95, 0xb461, v132
	v_sub_f16_e64 v65, v22, v130
	v_add_f16_e32 v69, v68, v69
	v_fmamk_f16 v70, v67, 0xbacd, v83
	v_add_f16_e32 v68, v12, v23
	v_mul_f16_e64 v84, 0x3964, v174
	v_sub_f16_e64 v160, v60, v35
	v_fmamk_f16 v72, v65, 0x3bb2, v95
	v_add_f16_e64 v150, v40, v53
	v_add_f16_e32 v69, v70, v69
	v_fmamk_f16 v73, v68, 0x39e9, v84
	v_add_f16_e32 v70, v11, v24
	v_mul_f16_e64 v86, 0xba62, v160
	v_sub_f16_e64 v166, v56, v36
	v_mul_f16_e64 v114, 0xbacd, v165
	v_add_f16_e32 v74, v72, v71
	v_mul_f16_e64 v102, 0x2de8, v150
	v_add_f16_e32 v69, v73, v69
	v_fmamk_f16 v73, v70, 0xb8d2, v86
	v_add_f16_e32 v72, v14, v21
	v_mul_f16_e64 v87, 0x3b29, v166
	v_sub_f16_e32 v71, v17, v41
	v_fmamk_f16 v76, v59, 0x3836, v114
	v_mul_f16_e64 v103, 0x3722, v159
	v_add_f16_e32 v69, v73, v69
	v_fmamk_f16 v75, v72, 0x3722, v87
	v_fmamk_f16 v77, v71, 0xbbf7, v102
	v_add_f16_e32 v76, v51, v76
	v_fmamk_f16 v79, v58, 0xbb29, v103
	v_mul_f16_e64 v104, 0x2de8, v153
	v_sub_f16_e64 v161, v57, v39
	v_add_f16_e32 v75, v75, v69
	v_add_f16_e32 v69, v77, v74
	;; [unrolled: 1-line block ×3, first 2 shown]
	v_fmamk_f16 v77, v18, 0x3bf7, v104
	v_mul_f16_e64 v105, 0xb8d2, v149
	v_mul_f16_e64 v120, 0xb836, v168
	v_add_f16_e64 v73, v130, v22
	v_mul_f16_e64 v89, 0xbbb2, v161
	v_sub_f16_e64 v179, v53, v40
	v_add_f16_e32 v76, v77, v76
	v_fmamk_f16 v77, v13, 0xba62, v105
	v_mul_f16_e64 v111, 0x3b76, v146
	v_fmamk_f16 v79, v64, 0xbacd, v120
	v_mul_f16_e64 v121, 0x3b29, v176
	v_fmamk_f16 v78, v73, 0xb461, v89
	v_add_f16_e32 v74, v41, v17
	v_mul_f16_e64 v97, 0x3bf7, v179
	v_add_f16_e32 v76, v77, v76
	v_fmamk_f16 v77, v54, 0x35c8, v111
	v_mul_f16_e64 v112, 0xbbdd, v131
	v_add_f16_e32 v79, v15, v79
	v_fmamk_f16 v80, v66, 0x3722, v121
	;; [unrolled: 3-line block ×3, first 2 shown]
	v_add_f16_e32 v76, v77, v76
	v_fmamk_f16 v77, v55, 0x31e1, v112
	v_mul_f16_e64 v113, 0x39e9, v132
	v_add_f16_e32 v79, v80, v79
	v_fmamk_f16 v80, v67, 0x2de8, v122
	v_mul_f16_e64 v126, 0x3a62, v174
	v_add_f16_e32 v76, v77, v76
	v_fmamk_f16 v77, v65, 0xb964, v113
	v_add_f16_e32 v75, v78, v75
	v_add_f16_e32 v78, v80, v79
	v_fmamk_f16 v79, v68, 0xb8d2, v126
	v_mul_f16_e64 v128, 0xb5c8, v160
	v_mul_f16_e64 v106, 0xb8d2, v165
	v_add_f16_e32 v76, v77, v76
	v_mul_f16_e64 v115, 0xb461, v150
	v_add_f16_e32 v77, v79, v78
	v_fma_f16 v78, 0x3b76, v70, v128
	v_mul_f16_e64 v138, 0xb1e1, v166
	v_fmamk_f16 v80, v59, 0x3a62, v106
	v_mul_f16_e64 v99, 0xb461, v159
	v_fmamk_f16 v79, v71, 0x3bb2, v115
	v_add_f16_e32 v77, v78, v77
	v_fma_f16 v78, 0xbbdd, v72, v138
	v_mul_f16_e64 v140, 0x3964, v161
	v_add_f16_e32 v80, v51, v80
	v_fmamk_f16 v81, v58, 0xbbb2, v99
	v_mul_f16_e64 v100, 0x3b76, v153
	v_add_f16_e32 v77, v78, v77
	v_fma_f16 v78, 0x39e9, v73, v140
	v_add_f16_e32 v76, v79, v76
	v_add_f16_e32 v79, v81, v80
	v_fmamk_f16 v80, v18, 0x35c8, v100
	v_mul_f16_e64 v101, 0xbacd, v149
	v_mul_f16_e64 v137, 0xba62, v168
	v_add_f16_e32 v77, v78, v77
	v_mul_f16_e64 v107, 0x2de8, v146
	v_add_f16_e32 v78, v80, v79
	v_fmamk_f16 v79, v13, 0x3836, v101
	v_fma_f16 v81, 0xb8d2, v64, v137
	v_mul_f16_e64 v139, 0x3bb2, v176
	v_mul_f16_e64 v119, 0xbbb2, v179
	v_mul_f16_e64 v108, 0x39e9, v131
	v_add_f16_e32 v78, v79, v78
	v_fmamk_f16 v79, v54, 0xbbf7, v107
	v_add_f16_e32 v81, v15, v81
	v_fma_f16 v82, 0xb461, v66, v139
	v_mul_f16_e64 v123, 0xb5c8, v177
	v_fmamk_f16 v80, v74, 0xb461, v119
	v_add_f16_e32 v78, v79, v78
	v_fmamk_f16 v79, v55, 0x3964, v108
	v_mul_f16_e64 v109, 0xbbdd, v132
	v_add_f16_e32 v81, v82, v81
	v_fmamk_f16 v82, v67, 0x3b76, v123
	v_mul_f16_e64 v124, 0xb836, v174
	v_add_f16_e32 v78, v79, v78
	v_fmamk_f16 v79, v65, 0x31e1, v109
	v_add_f16_e32 v77, v80, v77
	v_add_f16_e32 v80, v82, v81
	v_fmamk_f16 v81, v68, 0xbacd, v124
	v_mul_f16_e64 v125, 0x3bf7, v160
	v_mul_f16_e64 v155, 0xb461, v165
	v_add_f16_e32 v78, v79, v78
	v_mul_f16_e64 v110, 0x3722, v150
	v_add_f16_e32 v79, v81, v80
	v_fmamk_f16 v80, v70, 0x2de8, v125
	v_mul_f16_e64 v135, 0xb964, v166
	v_fma_f16 v82, 0x3bb2, v59, v155
	v_mul_f16_e64 v156, 0xbacd, v159
	v_fmamk_f16 v81, v71, 0xbb29, v110
	v_add_f16_e32 v79, v80, v79
	v_fma_f16 v80, 0x39e9, v72, v135
	v_mul_f16_e64 v136, 0xb1e1, v161
	v_add_f16_e32 v82, v51, v82
	v_fma_f16 v85, 0xb836, v58, v156
	v_mul_f16_e64 v157, 0x39e9, v153
	v_add_f16_e32 v79, v80, v79
	v_fma_f16 v80, 0xbbdd, v73, v136
	v_add_f16_e32 v78, v81, v78
	v_add_f16_e32 v81, v85, v82
	v_fma_f16 v82, 0xb964, v18, v157
	v_mul_f16_e64 v158, 0x3722, v149
	v_mul_f16_e64 v147, 0xbbb2, v168
	v_add_f16_e32 v79, v80, v79
	v_mul_f16_e64 v171, 0xbbdd, v146
	v_add_f16_e32 v80, v82, v81
	v_fma_f16 v81, 0x3b29, v13, v158
	v_fma_f16 v85, 0xb461, v64, v147
	v_mul_f16_e64 v133, 0x3836, v176
	v_mul_f16_e64 v141, 0x3b29, v179
	;; [unrolled: 1-line block ×3, first 2 shown]
	v_add_f16_e32 v80, v81, v80
	v_fma_f16 v81, 0x31e1, v54, v171
	v_add_f16_e32 v85, v15, v85
	v_fma_f16 v117, 0xbacd, v66, v133
	v_mul_f16_e64 v116, 0x3964, v177
	v_fma_f16 v82, 0x3722, v74, v141
	v_add_f16_e32 v80, v81, v80
	v_fma_f16 v81, 0xbbf7, v55, v172
	v_mul_f16_e64 v145, 0x3b76, v132
	v_add_f16_e32 v85, v117, v85
	v_fmamk_f16 v118, v67, 0x39e9, v116
	v_mul_f16_e64 v117, 0xbb29, v174
	v_add_f16_e32 v80, v81, v80
	v_fma_f16 v81, 0x35c8, v65, v145
	v_add_f16_e32 v79, v82, v79
	v_add_f16_e32 v82, v118, v85
	v_fmamk_f16 v85, v68, 0x3722, v117
	v_mul_f16_e64 v118, 0xb1e1, v160
	v_mul_f16_e64 v175, 0x2de8, v165
	v_add_f16_e32 v80, v81, v80
	v_mul_f16_e64 v154, 0xb8d2, v150
	v_add_f16_e32 v81, v85, v82
	v_fmamk_f16 v82, v70, 0xbbdd, v118
	v_mul_f16_e64 v127, 0x3bf7, v166
	v_fma_f16 v134, 0x3bf7, v59, v175
	v_mul_f16_e64 v148, 0xbbdd, v159
	v_fma_f16 v85, 0x3a62, v71, v154
	v_add_f16_e32 v81, v82, v81
	v_fmamk_f16 v82, v72, 0x2de8, v127
	v_mul_f16_e64 v129, 0xb5c8, v161
	v_add_f16_e64 v134, v51, v134
	v_fma_f16 v142, 0x31e1, v58, v148
	v_mul_f16_e64 v151, 0xb461, v153
	v_add_f16_e32 v81, v82, v81
	v_fma_f16 v82, 0x3b76, v73, v129
	v_add_f16_e32 v80, v85, v80
	v_add_f16_e64 v85, v142, v134
	v_fma_f16 v142, 0xbbb2, v18, v151
	v_mul_f16_e64 v152, 0x3b76, v149
	v_mul_f16_e64 v181, 0xbbf7, v168
	v_add_f16_e32 v81, v82, v81
	v_mul_f16_e64 v169, 0x3722, v146
	v_add_f16_e64 v82, v142, v85
	v_fma_f16 v85, 0xb5c8, v13, v152
	v_fma_f16 v143, 0x2de8, v64, v181
	v_mul_f16_e64 v182, 0xb1e1, v176
	v_mul_f16_e64 v134, 0xba62, v179
	;; [unrolled: 1-line block ×3, first 2 shown]
	v_add_f16_e32 v82, v85, v82
	v_fma_f16 v85, 0x3b29, v54, v169
	v_add_f16_e64 v143, v15, v143
	v_fma_f16 v144, 0xbbdd, v66, v182
	v_mul_f16_e64 v183, 0x3bb2, v177
	v_fma_f16 v142, 0xb8d2, v74, v134
	v_add_f16_e32 v82, v85, v82
	v_fma_f16 v85, 0x3836, v55, v170
	v_mul_f16_e64 v173, 0xb8d2, v132
	v_add_f16_e64 v143, v144, v143
	v_fma_f16 v144, 0xb461, v67, v183
	v_mul_f16_e64 v186, 0x35c8, v174
	v_add_f16_e32 v82, v85, v82
	v_fma_f16 v85, 0xba62, v65, v173
	v_add_f16_e64 v81, v142, v81
	v_add_f16_e64 v142, v144, v143
	v_fma_f16 v143, 0x3b76, v68, v186
	v_mul_f16_e64 v187, 0xbb29, v160
	v_mul_f16_e64 v162, 0x3722, v165
	v_add_f16_e32 v82, v85, v82
	v_mul_f16_e64 v178, 0x39e9, v150
	v_add_f16_e64 v85, v143, v142
	v_fma_f16 v143, 0x3722, v70, v187
	v_mul_f16_e64 v189, 0xb836, v166
	v_fma_f16 v163, 0x3b29, v59, v162
	v_mul_f16_e64 v142, 0xb8d2, v159
	v_fma_f16 v144, 0xb964, v71, v178
	v_add_f16_e64 v85, v143, v85
	v_fma_f16 v164, 0xbacd, v72, v189
	v_mul_f16_e64 v191, 0x3a62, v161
	v_add_f16_e64 v163, v51, v163
	v_fma_f16 v167, 0x3a62, v58, v142
	v_mul_f16_e64 v143, 0xbbdd, v153
	v_add_f16_e64 v85, v164, v85
	v_fma_f16 v164, 0xb8d2, v73, v191
	v_add_f16_e64 v82, v144, v82
	v_add_f16_e64 v163, v167, v163
	v_fma_f16 v167, 0xb1e1, v18, v143
	v_mul_f16_e64 v144, 0xb461, v149
	v_mul_f16_e64 v188, 0xbb29, v168
	v_add_f16_e64 v85, v164, v85
	v_mul_f16_e64 v180, 0x3964, v179
	v_add_f16_e64 v164, v167, v163
	v_fma_f16 v167, 0xbbb2, v13, v144
	v_mul_f16_e64 v163, 0x39e9, v146
	v_fma_f16 v184, 0x3722, v64, v188
	v_mul_f16_e64 v190, 0xba62, v176
	v_fma_f16 v185, 0x39e9, v74, v180
	v_add_f16_e64 v167, v167, v164
	v_fma_f16 v192, 0xb964, v54, v163
	v_mul_f16_e64 v164, 0x3b76, v131
	v_add_f16_e64 v193, v15, v184
	v_fma_f16 v194, 0xb8d2, v66, v190
	v_mul_f16_e64 v184, 0x31e1, v177
	v_add_f16_e64 v167, v192, v167
	v_fma_f16 v192, 0x35c8, v55, v164
	v_add_f16_e64 v85, v185, v85
	v_add_f16_e64 v193, v194, v193
	v_fma_f16 v194, 0xbbdd, v67, v184
	v_mul_f16_e64 v185, 0x3bb2, v174
	v_add_f16_e64 v195, v192, v167
	v_mul_f16_e64 v192, 0x39e9, v165
	v_add_f16_e64 v197, v16, v15
	v_add_f16_e64 v194, v194, v193
	v_fma_f16 v196, 0xb461, v68, v185
	v_mul_f16_e64 v16, 0x3964, v160
	v_fma_f16 v198, 0x3964, v59, v192
	v_mul_f16_e64 v193, 0x2de8, v159
	v_mul_f16_e64 v167, 0x2de8, v132
	v_add_f16_e64 v196, v196, v194
	v_add_f16_e64 v194, v19, v197
	v_fma_f16 v197, 0x39e9, v70, v16
	v_mul_f16_e64 v19, 0xb5c8, v166
	v_add_f16_e64 v198, v51, v198
	v_fma_f16 v199, 0x3bf7, v58, v193
	v_add_f16_e64 v200, v20, v194
	v_mul_f16_e64 v194, 0xb8d2, v153
	v_add_f16_e64 v196, v197, v196
	v_fma_f16 v197, 0x3b76, v72, v19
	v_add_f16_e64 v198, v199, v198
	v_mul_f16_e64 v20, 0xbbf7, v161
	v_add_f16_e64 v199, v23, v200
	v_fma_f16 v200, 0x3a62, v18, v194
	v_mul_f16_e64 v23, 0xbbdd, v149
	v_add_f16_e64 v196, v197, v196
	v_mul_f16_e64 v202, 0xb964, v168
	v_add_f16_e64 v197, v24, v199
	v_fma_f16 v199, 0x2de8, v73, v20
	v_add_f16_e64 v198, v200, v198
	v_fma_f16 v200, 0x31e1, v13, v23
	v_mul_f16_e64 v24, 0xbacd, v146
	v_add_f16_e64 v197, v21, v197
	v_add_f16_e64 v199, v199, v196
	v_fma_f16 v201, 0x3bf7, v65, v167
	v_add_f16_e64 v196, v200, v198
	v_fma_f16 v198, 0xb836, v54, v24
	v_mul_f16_e64 v21, 0xbacd, v150
	v_add_f16_e64 v203, v22, v197
	v_mul_f16_e64 v204, 0xb836, v179
	v_mul_f16_e64 v205, 0xb461, v131
	v_add_f16_e64 v197, v198, v196
	v_fma_f16 v196, 0x39e9, v64, v202
	v_mul_f16_e64 v200, 0xbbf7, v176
	v_add_f16_e64 v195, v201, v195
	v_fmamk_f16 v22, v71, 0x3836, v21
	v_fma_f16 v198, 0xbacd, v74, v204
	v_fma_f16 v201, 0xbbb2, v55, v205
	v_add_f16_e64 v206, v15, v196
	v_fma_f16 v207, 0x2de8, v66, v200
	v_mul_f16_e64 v196, 0xba62, v177
	v_add_f16_e64 v22, v22, v195
	v_add_f16_e64 v195, v198, v199
	v_add_f16_e64 v199, v201, v197
	v_mul_f16_e64 v201, 0x3722, v132
	v_add_f16_e64 v198, v207, v206
	v_fma_f16 v206, 0xb8d2, v67, v196
	v_mul_f16_e64 v197, 0xb1e1, v174
	v_add_f16_e64 v207, v17, v203
	v_fma_f16 v203, 0xbb29, v65, v201
	;; [unrolled: 3-line block ×3, first 2 shown]
	v_mul_f16_e64 v198, 0x3836, v160
	v_add_f16_e64 v203, v203, v199
	v_mul_f16_e64 v199, 0x3bb2, v166
	v_fma_f16 v210, 0xb5c8, v71, v17
	v_add_f16_e64 v208, v209, v208
	v_fma_f16 v209, 0xbacd, v70, v198
	v_mul_f16_e64 v206, 0x3b76, v165
	v_mul_f16_e64 v168, 0xb5c8, v168
	v_add_f16_e64 v165, v210, v203
	v_mul_f16_e64 v203, 0x39e9, v159
	v_add_f16_e64 v208, v209, v208
	v_fma_f16 v209, 0xb461, v72, v199
	v_mul_f16_e64 v159, 0x3b29, v161
	v_mul_f16_e64 v176, 0xb964, v176
	v_add_f16_e64 v41, v41, v207
	v_mul_f16_e64 v177, 0xbb29, v177
	v_add_f16_e64 v208, v209, v208
	v_add_f16_e64 v209, v63, v51
	v_mul_f16_e64 v63, 0x2de8, v149
	v_fma_f16 v212, 0x3722, v73, v159
	v_add_f16_e64 v41, v130, v41
	v_fmac_f16_e32 v90, 0xb1e1, v59
	v_add_f16_e64 v149, v62, v209
	v_mul_f16_e64 v62, 0x35c8, v179
	v_add_f16_e64 v208, v212, v208
	v_add_f16_e32 v14, v14, v41
	v_add_f16_e32 v90, v51, v90
	v_add_f16_e64 v52, v52, v149
	v_fma_f16 v149, 0x3b76, v74, v62
	v_fmac_f16_e32 v91, 0x35c8, v58
	v_add_f16_e32 v11, v11, v14
	v_fmac_f16_e32 v92, 0xb836, v18
	v_add_f16_e32 v61, v61, v52
	v_add_f16_e64 v52, v149, v208
	v_fma_f16 v149, 0x3b76, v64, v168
	v_add_f16_e32 v11, v12, v11
	v_fmac_f16_e32 v93, 0x3964, v13
	v_add_f16_e32 v61, v60, v61
	v_mul_f16_e64 v60, 0xb8d2, v131
	v_add_f16_e64 v131, v15, v149
	v_fma_f16 v149, 0x39e9, v66, v176
	v_add_f16_e32 v9, v9, v11
	v_add_f16_e32 v61, v56, v61
	v_mul_f16_e64 v56, 0xbacd, v132
	v_mul_f16_e64 v132, 0xbbf7, v174
	v_add_f16_e64 v131, v149, v131
	v_add_f16_e32 v9, v10, v9
	v_add_f16_e32 v57, v57, v61
	v_fma_f16 v61, 0x3722, v67, v177
	v_fmac_f16_e32 v114, 0xb836, v59
	v_fmac_f16_e32 v103, 0x3b29, v58
	v_add_f16_e32 v9, v31, v9
	v_add_f16_e32 v53, v53, v57
	v_add_f16_e64 v57, v61, v131
	v_fma_f16 v61, 0x2de8, v68, v132
	v_fma_f16 v31, v64, 0xbbdd, -v94
	v_fmac_f16_e32 v104, 0xbbf7, v18
	v_add_f16_e32 v40, v40, v53
	v_mul_f16_e64 v53, 0xbbb2, v160
	v_add_f16_e32 v57, v61, v57
	v_mul_f16_e64 v61, 0xba62, v166
	v_add_f16_e32 v31, v15, v31
	v_add_f16_e32 v39, v39, v40
	v_fmamk_f16 v40, v70, 0xb461, v53
	v_fmac_f16_e32 v105, 0x3a62, v13
	v_fmac_f16_e32 v111, 0xb5c8, v54
	;; [unrolled: 1-line block ×3, first 2 shown]
	v_add_f16_e32 v36, v36, v39
	v_add_f16_e32 v40, v40, v57
	v_fmamk_f16 v57, v72, 0xb8d2, v61
	v_add_f16_e32 v39, v91, v90
	v_fmac_f16_e32 v113, 0x3964, v65
	v_add_f16_e32 v14, v35, v36
	v_fmac_f16_e32 v115, 0xbbb2, v71
	v_add_f16_e32 v40, v57, v40
	v_mul_f16_e64 v57, 0xb836, v161
	v_add_f16_e32 v35, v92, v39
	v_add_f16_e32 v12, v34, v14
	v_mul_f16_e64 v39, 0xb1e1, v179
	v_fma_f16 v210, 0x35c8, v59, v206
	v_fmamk_f16 v36, v73, 0xbacd, v57
	v_add_f16_e32 v14, v93, v35
	v_add_f16_e32 v11, v33, v12
	v_fmamk_f16 v35, v74, 0xbbdd, v39
	v_add_f16_e32 v33, v51, v114
	v_add_f16_e32 v34, v36, v40
	v_fmac_f16_e32 v106, 0xba62, v59
	v_add_f16_e32 v11, v32, v11
	v_fma_f16 v32, v66, 0x3b76, -v88
	v_add_f16_e32 v33, v103, v33
	v_add_f16_e32 v10, v35, v34
	v_fma_f16 v34, v64, 0xbacd, -v120
	v_fma_f16 v35, v66, 0x3722, -v121
	v_add_f16_e32 v31, v32, v31
	v_fma_f16 v32, v67, 0xbacd, -v83
	v_add_f16_e32 v33, v104, v33
	v_add_f16_e32 v34, v15, v34
	v_add_f16_e64 v210, v51, v210
	v_fma_f16 v211, 0x3964, v58, v203
	v_add_f16_e32 v31, v32, v31
	v_fma_f16 v32, v68, 0x39e9, -v84
	v_add_f16_e32 v34, v35, v34
	v_fma_f16 v35, v67, 0x2de8, -v122
	v_add_f16_e32 v33, v105, v33
	v_mul_f16_e64 v153, 0x3722, v153
	v_add_f16_e32 v31, v32, v31
	v_fma_f16 v32, v70, 0xb8d2, -v86
	v_add_f16_e32 v34, v35, v34
	v_fma_f16 v35, v68, 0xb8d2, -v126
	v_add_f16_e32 v33, v111, v33
	v_add_f16_e32 v11, v37, v11
	;; [unrolled: 1-line block ×3, first 2 shown]
	v_fma_f16 v32, v72, 0x3722, -v87
	v_add_f16_e32 v34, v35, v34
	v_fma_f16 v35, v70, 0x3b76, -v128
	v_add_f16_e32 v33, v112, v33
	v_add_f16_e32 v36, v51, v106
	;; [unrolled: 1-line block ×3, first 2 shown]
	v_fma_f16 v32, v73, 0xb461, -v89
	v_add_f16_e32 v34, v35, v34
	v_fma_f16 v35, v72, 0xbbdd, -v138
	v_add_f16_e32 v33, v113, v33
	v_fmac_f16_e32 v99, 0x3bb2, v58
	v_add_f16_e32 v31, v32, v31
	v_fma_f16 v32, v74, 0x2de8, -v97
	v_add_f16_e32 v34, v35, v34
	v_fma_f16 v35, v73, 0x39e9, -v140
	v_fma_f16 v37, v66, 0xb461, -v139
	v_fmac_f16_e64 v155, 0xbbb2, v59
	v_add_f16_e32 v31, v32, v31
	v_add_f16_e32 v32, v115, v33
	v_fma_f16 v33, v64, 0xb8d2, -v137
	v_add_f16_e32 v34, v35, v34
	v_fma_f16 v35, v74, 0xb461, -v119
	v_add_f16_e64 v210, v211, v210
	v_fma_f16 v211, 0x3b29, v18, v153
	v_add_f16_e32 v33, v15, v33
	v_fmac_f16_e64 v156, 0x3836, v58
	v_add_f16_e32 v34, v35, v34
	v_add_f16_e32 v35, v99, v36
	v_fma_f16 v36, v67, 0x3b76, -v123
	v_add_f16_e32 v33, v37, v33
	v_add_f16_e64 v37, v51, v155
	v_add_f16_e64 v209, v211, v210
	v_fma_f16 v210, 0x3bf7, v13, v63
	v_mul_f16_e64 v146, 0xb461, v146
	v_add_f16_e32 v33, v36, v33
	v_fma_f16 v36, v68, 0xbacd, -v124
	v_add_f16_e64 v37, v156, v37
	v_fmac_f16_e64 v157, 0x3964, v18
	v_add_f16_e64 v209, v210, v209
	v_fma_f16 v210, 0x3bb2, v54, v146
	v_add_f16_e32 v33, v36, v33
	v_fma_f16 v36, v70, 0x2de8, -v125
	v_add_f16_e64 v37, v157, v37
	v_fmac_f16_e64 v158, 0xbb29, v13
	v_add_f16_e64 v208, v210, v209
	v_fma_f16 v209, 0x3a62, v55, v60
	v_add_f16_e32 v33, v36, v33
	v_fma_f16 v36, v72, 0x39e9, -v135
	v_add_f16_e64 v37, v158, v37
	v_fmac_f16_e64 v171, 0xb1e1, v54
	v_add_f16_e64 v149, v209, v208
	v_fma_f16 v174, 0x3836, v65, v56
	v_mul_f16_e64 v130, 0xbbdd, v150
	v_add_f16_e32 v33, v36, v33
	v_fma_f16 v36, v73, 0xbbdd, -v136
	v_add_f16_e64 v37, v171, v37
	v_fmac_f16_e64 v172, 0x3bf7, v55
	v_add_f16_e64 v131, v174, v149
	v_fma_f16 v41, 0x31e1, v71, v130
	v_fmac_f16_e32 v98, 0xba62, v54
	v_add_f16_e32 v33, v36, v33
	v_fma_f16 v36, v74, 0x3722, -v141
	v_add_f16_e64 v37, v172, v37
	v_fmac_f16_e64 v145, 0xb5c8, v65
	v_fma_f16 v40, v64, 0xb461, -v147
	v_fmac_f16_e64 v175, 0xbbf7, v59
	v_add_f16_e32 v12, v98, v14
	v_add_f16_e64 v14, v41, v131
	v_add_f16_e32 v33, v36, v33
	v_add_f16_e64 v36, v145, v37
	v_add_f16_e32 v37, v15, v40
	v_fma_f16 v40, v66, 0xbacd, -v133
	v_add_f16_e64 v41, v51, v175
	v_fmac_f16_e64 v148, 0xb1e1, v58
	v_fma_f16 v83, v64, 0x2de8, -v181
	v_fmac_f16_e64 v151, 0x3bb2, v18
	v_add_f16_e32 v37, v40, v37
	v_fma_f16 v40, v67, 0x39e9, -v116
	v_add_f16_e64 v41, v148, v41
	v_add_f16_e32 v83, v15, v83
	v_fma_f16 v84, v66, 0xbbdd, -v182
	v_fmac_f16_e64 v152, 0x35c8, v13
	v_add_f16_e32 v37, v40, v37
	v_fma_f16 v40, v68, 0x3722, -v117
	v_add_f16_e64 v41, v151, v41
	v_add_f16_e32 v83, v84, v83
	;; [unrolled: 6-line block ×6, first 2 shown]
	v_fma_f16 v84, v73, 0xb8d2, -v191
	v_fmac_f16_e64 v162, 0xbb29, v59
	v_add_f16_e32 v37, v40, v37
	v_add_f16_e64 v40, v178, v41
	v_fma_f16 v41, v64, 0x3722, -v188
	v_add_f16_e32 v83, v84, v83
	v_fma_f16 v84, v74, 0x39e9, -v180
	v_add_f16_e64 v86, v51, v162
	v_fmac_f16_e64 v142, 0xba62, v58
	v_add_f16_e32 v41, v15, v41
	v_fma_f16 v87, v66, 0xb8d2, -v190
	v_fmac_f16_e64 v192, 0xb964, v59
	v_add_f16_e32 v83, v84, v83
	v_add_f16_e64 v84, v142, v86
	v_fmac_f16_e64 v143, 0x31e1, v18
	v_add_f16_e32 v41, v87, v41
	v_fma_f16 v86, v67, 0xbbdd, -v184
	v_add_f16_e64 v87, v51, v192
	v_fmac_f16_e64 v193, 0xbbf7, v58
	v_add_f16_e64 v84, v143, v84
	v_fmac_f16_e64 v144, 0x3bb2, v13
	v_add_f16_e32 v41, v86, v41
	v_fma_f16 v86, v68, 0xb461, -v185
	v_add_f16_e64 v87, v193, v87
	v_fmac_f16_e64 v194, 0xba62, v18
	v_add_f16_e64 v84, v144, v84
	v_fmac_f16_e64 v163, 0x3964, v54
	v_add_f16_e32 v41, v86, v41
	v_fma_f16 v16, v70, 0x39e9, -v16
	v_add_f16_e64 v86, v194, v87
	v_fmac_f16_e32 v23, 0xb1e1, v13
	v_add_f16_e64 v84, v163, v84
	v_fmac_f16_e64 v164, 0xb5c8, v55
	v_add_f16_e32 v16, v16, v41
	v_fma_f16 v19, v72, 0x3b76, -v19
	v_add_f16_e32 v23, v23, v86
	v_fmac_f16_e32 v24, 0x3836, v54
	v_add_f16_e64 v41, v164, v84
	v_fmac_f16_e64 v167, 0xbbf7, v65
	v_add_f16_e32 v16, v19, v16
	v_fma_f16 v19, v73, 0x2de8, -v20
	v_add_f16_e32 v20, v24, v23
	v_fmac_f16_e64 v205, 0x3bb2, v55
	v_add_f16_e64 v23, v167, v41
	v_fmac_f16_e32 v21, 0xb836, v71
	v_add_f16_e32 v16, v19, v16
	v_fma_f16 v19, v74, 0xbacd, -v204
	v_add_f16_e64 v20, v205, v20
	v_fmac_f16_e64 v201, 0x3b29, v65
	v_fma_f16 v24, v64, 0x39e9, -v202
	v_fmac_f16_e64 v206, 0xb5c8, v59
	v_fma_f16 v41, v64, 0x3b76, -v168
	v_add_f16_e32 v21, v21, v23
	v_add_f16_e32 v16, v19, v16
	v_add_f16_e64 v19, v201, v20
	v_add_f16_e32 v20, v15, v24
	v_fma_f16 v23, v66, 0x2de8, -v200
	v_add_f16_e64 v24, v51, v206
	v_fmac_f16_e64 v203, 0xb964, v58
	v_fmac_f16_e32 v100, 0xb5c8, v18
	v_fmac_f16_e64 v153, 0xbb29, v18
	v_add_f16_e32 v15, v15, v41
	v_fma_f16 v18, v66, 0x39e9, -v176
	v_add_f16_e32 v20, v23, v20
	v_fma_f16 v23, v67, 0xb8d2, -v196
	v_add_f16_e64 v24, v203, v24
	v_fmac_f16_e32 v101, 0xb836, v13
	v_fmac_f16_e32 v63, 0xbbf7, v13
	v_add_f16_e32 v13, v18, v15
	v_fma_f16 v15, v67, 0x3722, -v177
	v_add_f16_e32 v35, v100, v35
	v_add_f16_e32 v20, v23, v20
	v_fma_f16 v23, v68, 0xbbdd, -v197
	v_add_f16_e64 v24, v153, v24
	v_add_f16_e32 v13, v15, v13
	v_fma_f16 v15, v68, 0x2de8, -v132
	v_add_f16_e32 v35, v101, v35
	v_fmac_f16_e32 v107, 0x3bf7, v54
	v_add_f16_e32 v18, v23, v20
	v_fma_f16 v20, v70, 0xbacd, -v198
	v_add_f16_e32 v23, v63, v24
	v_fmac_f16_e64 v146, 0xbbb2, v54
	v_add_f16_e32 v13, v15, v13
	v_fma_f16 v15, v70, 0xb461, -v53
	v_fmac_f16_e32 v96, 0x3b29, v55
	v_add_f16_e32 v35, v107, v35
	v_fmac_f16_e32 v108, 0xb964, v55
	v_add_f16_e32 v18, v20, v18
	v_fma_f16 v20, v72, 0xb461, -v199
	v_add_f16_e64 v23, v146, v23
	v_fmac_f16_e32 v60, 0xba62, v55
	v_add_f16_e32 v13, v15, v13
	v_fma_f16 v15, v72, 0xb8d2, -v61
	v_add_f16_e32 v12, v96, v12
	v_fmac_f16_e32 v95, 0xbbb2, v65
	v_fmac_f16_e32 v17, 0x35c8, v71
	v_add_f16_e32 v35, v108, v35
	v_fmac_f16_e32 v109, 0xb1e1, v65
	v_add_f16_e32 v18, v20, v18
	v_fma_f16 v20, v73, 0x3722, -v159
	v_add_f16_e32 v23, v60, v23
	v_fmac_f16_e32 v56, 0xb836, v65
	v_add_f16_e32 v13, v15, v13
	v_fma_f16 v15, v73, 0xbacd, -v57
	v_add_f16_e32 v12, v95, v12
	v_fmac_f16_e32 v102, 0x3bf7, v71
	v_add_f16_e32 v17, v17, v19
	v_and_b32_e32 v19, 0xffff, v30
	v_add_f16_e32 v35, v109, v35
	v_fmac_f16_e32 v110, 0x3b29, v71
	v_fmac_f16_e64 v154, 0xba62, v71
	v_add_f16_e32 v18, v20, v18
	v_fma_f16 v20, v74, 0x3b76, -v62
	v_add_f16_e32 v23, v56, v23
	v_fmac_f16_e64 v130, 0xb1e1, v71
	v_add_f16_e32 v13, v15, v13
	v_fma_f16 v15, v74, 0xbbdd, -v39
	v_add_f16_e32 v12, v102, v12
	v_lshl_add_u32 v19, v19, 2, v29
	v_pack_b32_f16 v10, v10, v14
	v_pack_b32_f16 v9, v9, v11
	v_add_f16_e32 v35, v110, v35
	v_pack_b32_f16 v11, v195, v22
	v_pack_b32_f16 v14, v52, v165
	v_add_f16_e64 v36, v154, v36
	v_add_f16_e32 v18, v20, v18
	v_add_f16_e64 v20, v130, v23
	v_pack_b32_f16 v22, v81, v80
	v_pack_b32_f16 v23, v85, v82
	;; [unrolled: 1-line block ×4, first 2 shown]
	v_add_f16_e32 v13, v15, v13
	ds_store_2addr_b32 v19, v9, v10 offset1:1
	ds_store_2addr_b32 v19, v14, v11 offset0:2 offset1:3
	ds_store_2addr_b32 v19, v23, v22 offset0:4 offset1:5
	;; [unrolled: 1-line block ×3, first 2 shown]
	v_pack_b32_f16 v9, v31, v12
	v_pack_b32_f16 v10, v75, v69
	v_pack_b32_f16 v11, v33, v35
	v_pack_b32_f16 v12, v34, v32
	v_pack_b32_f16 v14, v83, v40
	v_pack_b32_f16 v15, v37, v36
	v_pack_b32_f16 v17, v18, v17
	v_pack_b32_f16 v16, v16, v21
	v_pack_b32_f16 v13, v13, v20
	ds_store_2addr_b32 v19, v10, v9 offset0:8 offset1:9
	ds_store_2addr_b32 v19, v12, v11 offset0:10 offset1:11
	;; [unrolled: 1-line block ×4, first 2 shown]
	ds_store_b32 v19, v13 offset:64
.LBB0_13:
	s_wait_alu 0xfffe
	s_or_b32 exec_lo, exec_lo, s0
	global_wb scope:SCOPE_SE
	s_wait_dscnt 0x0
	s_barrier_signal -1
	s_barrier_wait -1
	global_inv scope:SCOPE_SE
	ds_load_2addr_b32 v[9:10], v42 offset1:17
	ds_load_2addr_b32 v[11:12], v42 offset0:34 offset1:51
	ds_load_2addr_b32 v[13:14], v42 offset0:68 offset1:85
	;; [unrolled: 1-line block ×3, first 2 shown]
	ds_load_b32 v17, v42 offset:544
	s_wait_dscnt 0x4
	v_lshrrev_b32_e32 v19, 16, v10
	s_wait_dscnt 0x3
	v_lshrrev_b32_e32 v20, 16, v11
	v_lshrrev_b32_e32 v21, 16, v12
	v_mul_f16_e32 v30, v50, v10
	v_mul_f16_e32 v32, v49, v11
	s_wait_dscnt 0x2
	v_lshrrev_b32_e32 v22, 16, v13
	v_lshrrev_b32_e32 v23, 16, v14
	v_mul_f16_e32 v33, v48, v12
	v_mul_f16_e32 v34, v50, v19
	v_fma_f16 v19, v0, v19, -v30
	v_mul_f16_e32 v30, v49, v20
	v_fma_f16 v20, v1, v20, -v32
	v_mul_f16_e32 v32, v48, v21
	s_wait_dscnt 0x1
	v_lshrrev_b32_e32 v29, 16, v16
	s_wait_dscnt 0x0
	v_lshrrev_b32_e32 v31, 16, v17
	v_fma_f16 v21, v2, v21, -v33
	v_mul_f16_e32 v33, v47, v22
	v_fmac_f16_e32 v34, v0, v10
	v_fmac_f16_e32 v30, v1, v11
	v_fmac_f16_e32 v32, v2, v12
	v_mul_f16_e32 v0, v47, v13
	v_mul_f16_e32 v1, v46, v23
	;; [unrolled: 1-line block ×3, first 2 shown]
	v_lshrrev_b32_e32 v24, 16, v15
	v_fmac_f16_e32 v33, v3, v13
	v_fma_f16 v0, v3, v22, -v0
	v_fmac_f16_e32 v1, v4, v14
	v_fma_f16 v2, v4, v23, -v2
	v_mul_f16_e32 v3, v45, v31
	v_mul_f16_e32 v4, v45, v17
	;; [unrolled: 1-line block ×6, first 2 shown]
	v_fmac_f16_e32 v3, v7, v17
	v_fma_f16 v4, v7, v31, -v4
	v_fmac_f16_e32 v11, v6, v16
	v_fma_f16 v6, v6, v29, -v13
	;; [unrolled: 2-line block ×3, first 2 shown]
	v_add_f16_e32 v7, v34, v3
	v_add_f16_e32 v12, v19, v4
	;; [unrolled: 1-line block ×4, first 2 shown]
	v_sub_f16_e32 v3, v34, v3
	v_add_f16_e32 v15, v32, v10
	v_sub_f16_e32 v4, v19, v4
	v_add_f16_e32 v17, v21, v5
	v_add_f16_e32 v35, v13, v7
	;; [unrolled: 1-line block ×3, first 2 shown]
	v_sub_f16_e32 v11, v30, v11
	v_mul_f16_e32 v16, 0x3924, v3
	v_sub_f16_e32 v6, v20, v6
	v_mul_f16_e32 v19, 0x3924, v4
	v_sub_f16_e32 v22, v33, v1
	v_sub_f16_e32 v23, v0, v2
	v_add_f16_e32 v40, v15, v35
	v_add_f16_e32 v41, v17, v36
	v_sub_f16_e32 v10, v32, v10
	v_fmac_f16_e32 v16, 0x3be1, v11
	v_sub_f16_e32 v5, v21, v5
	v_fmac_f16_e32 v19, 0x3be1, v6
	v_add_f16_e32 v24, v33, v1
	v_add_f16_e32 v29, v0, v2
	v_mul_f16_e32 v30, 0xb924, v23
	v_mul_f16_e32 v32, 0xb924, v22
	v_add_f16_e32 v33, v33, v40
	v_add_f16_e32 v0, v0, v41
	v_lshrrev_b32_e32 v18, 16, v9
	v_fmac_f16_e32 v16, 0x3aee, v10
	v_fmac_f16_e32 v19, 0x3aee, v5
	;; [unrolled: 1-line block ×4, first 2 shown]
	v_add_f16_e32 v1, v1, v33
	v_add_f16_e32 v0, v2, v0
	v_fmamk_f16 v31, v24, 0x3a21, v9
	v_fmamk_f16 v20, v7, 0x3a21, v9
	;; [unrolled: 1-line block ×3, first 2 shown]
	v_fmac_f16_e32 v16, 0x3579, v22
	v_fmac_f16_e32 v19, 0x3579, v23
	v_fmamk_f16 v34, v29, 0x3a21, v18
	v_fmac_f16_e32 v30, 0xbaee, v5
	v_fmac_f16_e32 v32, 0xbaee, v10
	v_add_f16_e32 v37, v22, v3
	v_add_f16_e32 v39, v23, v4
	;; [unrolled: 1-line block ×4, first 2 shown]
	v_mul_f16_e32 v22, 0x3be1, v22
	v_mul_f16_e32 v23, 0x3be1, v23
	v_add_f16_e32 v1, v1, v9
	v_add_f16_e32 v0, v0, v18
	v_fmac_f16_e32 v9, 0x3a21, v13
	v_fmac_f16_e32 v18, 0x3a21, v14
	;; [unrolled: 1-line block ×5, first 2 shown]
	v_sub_f16_e32 v37, v37, v11
	v_sub_f16_e32 v39, v39, v6
	v_fma_f16 v11, v11, 0xb924, -v22
	v_fma_f16 v6, v6, 0xb924, -v23
	v_fmac_f16_e32 v9, 0x318f, v24
	v_fmac_f16_e32 v18, 0x318f, v29
	;; [unrolled: 1-line block ×3, first 2 shown]
	v_fmac_f16_e32 v31, -0.5, v15
	v_fmac_f16_e32 v20, 0x318f, v13
	v_fmac_f16_e32 v21, 0x318f, v14
	;; [unrolled: 1-line block ×4, first 2 shown]
	v_fmac_f16_e32 v9, -0.5, v15
	v_fmac_f16_e32 v18, -0.5, v17
	v_fmac_f16_e32 v34, -0.5, v17
	v_fmac_f16_e32 v31, 0xbb84, v13
	v_add_f16_e32 v2, v24, v35
	v_add_f16_e32 v13, v29, v36
	v_fmac_f16_e32 v20, -0.5, v15
	v_fmac_f16_e32 v21, -0.5, v17
	v_fmac_f16_e32 v11, 0x3579, v3
	v_fmac_f16_e32 v6, 0x3579, v4
	;; [unrolled: 1-line block ×5, first 2 shown]
	v_fmac_f16_e32 v41, -0.5, v2
	v_fmac_f16_e32 v42, -0.5, v13
	v_fmac_f16_e32 v20, 0xbb84, v24
	v_fmac_f16_e32 v21, 0xbb84, v29
	v_sub_f16_e32 v3, v9, v6
	v_add_f16_e32 v4, v11, v18
	v_sub_f16_e32 v31, v31, v30
	v_add_f16_e32 v34, v32, v34
	v_mul_f16_e32 v40, 0x3aee, v37
	v_mul_f16_e32 v2, 0x3aee, v39
	v_fmac_f16_e32 v41, 0xbaee, v39
	v_fmac_f16_e32 v42, 0x3aee, v37
	v_sub_f16_e32 v20, v20, v19
	v_add_f16_e32 v21, v16, v21
	v_fma_f16 v6, 2.0, v6, v3
	v_fma_f16 v9, -2.0, v11, v4
	v_fma_f16 v30, 2.0, v30, v31
	v_fma_f16 v5, -2.0, v32, v34
	;; [unrolled: 2-line block ×4, first 2 shown]
	v_pack_b32_f16 v0, v1, v0
	v_pack_b32_f16 v1, v20, v21
	;; [unrolled: 1-line block ×9, first 2 shown]
	ds_store_2addr_b32 v38, v0, v1 offset1:17
	ds_store_2addr_b32 v38, v10, v11 offset0:34 offset1:51
	ds_store_2addr_b32 v38, v3, v4 offset0:68 offset1:85
	;; [unrolled: 1-line block ×3, first 2 shown]
	ds_store_b32 v38, v6 offset:544
	global_wb scope:SCOPE_SE
	s_wait_dscnt 0x0
	s_barrier_signal -1
	s_barrier_wait -1
	global_inv scope:SCOPE_SE
	s_and_b32 exec_lo, exec_lo, vcc_lo
	s_cbranch_execz .LBB0_15
; %bb.14:
	global_load_b32 v0, v26, s[12:13]
	ds_load_b32 v1, v38
	s_mov_b32 s8, 0x1ac5701b
	s_mov_b32 s9, 0x3f7ac570
	v_mad_co_u64_u32 v[6:7], null, s4, v28, 0
	s_wait_dscnt 0x0
	v_lshrrev_b32_e32 v2, 16, v1
	s_wait_loadcnt 0x0
	v_lshrrev_b32_e32 v3, 16, v0
	s_delay_alu instid0(VALU_DEP_1) | instskip(SKIP_1) | instid1(VALU_DEP_2)
	v_mul_f16_e32 v4, v2, v3
	v_mul_f16_e32 v3, v1, v3
	v_fmac_f16_e32 v4, v1, v0
	s_delay_alu instid0(VALU_DEP_2) | instskip(NEXT) | instid1(VALU_DEP_2)
	v_fma_f16 v0, v0, v2, -v3
	v_cvt_f32_f16_e32 v1, v4
	s_delay_alu instid0(VALU_DEP_2) | instskip(SKIP_1) | instid1(VALU_DEP_3)
	v_cvt_f32_f16_e32 v2, v0
	v_mad_co_u64_u32 v[4:5], null, s6, v8, 0
	v_cvt_f64_f32_e32 v[0:1], v1
	s_delay_alu instid0(VALU_DEP_3) | instskip(SKIP_1) | instid1(VALU_DEP_2)
	v_cvt_f64_f32_e32 v[2:3], v2
	s_wait_alu 0xfffe
	v_mul_f64_e32 v[0:1], s[8:9], v[0:1]
	s_delay_alu instid0(VALU_DEP_2) | instskip(NEXT) | instid1(VALU_DEP_2)
	v_mul_f64_e32 v[2:3], s[8:9], v[2:3]
	v_and_or_b32 v0, 0x1ff, v1, v0
	s_delay_alu instid0(VALU_DEP_2)
	v_and_or_b32 v2, 0x1ff, v3, v2
	v_lshrrev_b32_e32 v9, 8, v1
	v_bfe_u32 v10, v1, 20, 11
	v_bfe_u32 v12, v3, 20, 11
	v_cmp_ne_u32_e32 vcc_lo, 0, v0
	v_lshrrev_b32_e32 v11, 8, v3
	v_mov_b32_e32 v0, v7
	v_sub_nc_u32_e32 v14, 0x3f1, v10
	v_sub_nc_u32_e32 v15, 0x3f1, v12
	v_cndmask_b32_e64 v13, 0, 1, vcc_lo
	v_cmp_ne_u32_e32 vcc_lo, 0, v2
	v_mad_co_u64_u32 v[7:8], null, s7, v8, v[5:6]
	v_add_nc_u32_e32 v10, 0xfffffc10, v10
	s_delay_alu instid0(VALU_DEP_4)
	v_and_or_b32 v13, 0xffe, v9, v13
	s_wait_alu 0xfffd
	v_cndmask_b32_e64 v2, 0, 1, vcc_lo
	v_add_nc_u32_e32 v12, 0xfffffc10, v12
	v_lshrrev_b32_e32 v3, 16, v3
	s_mul_u64 s[6:7], s[4:5], 36
	v_mov_b32_e32 v5, v7
	v_and_or_b32 v2, 0xffe, v11, v2
	v_med3_i32 v11, v14, 0, 13
	v_med3_i32 v14, v15, 0, 13
	v_or_b32_e32 v15, 0x1000, v13
	v_mad_co_u64_u32 v[8:9], null, s5, v28, v[0:1]
	v_or_b32_e32 v16, 0x1000, v2
	v_lshrrev_b32_e32 v1, 16, v1
	s_delay_alu instid0(VALU_DEP_4) | instskip(SKIP_1) | instid1(VALU_DEP_4)
	v_lshrrev_b32_e32 v0, v11, v15
	v_lshlrev_b64_e32 v[4:5], 2, v[4:5]
	v_lshrrev_b32_e32 v9, v14, v16
	v_mov_b32_e32 v7, v8
	s_delay_alu instid0(VALU_DEP_4) | instskip(NEXT) | instid1(VALU_DEP_3)
	v_lshlrev_b32_e32 v11, v11, v0
	v_lshlrev_b32_e32 v8, v14, v9
	v_lshl_or_b32 v14, v10, 12, v13
	s_delay_alu instid0(VALU_DEP_3) | instskip(SKIP_4) | instid1(VALU_DEP_2)
	v_cmp_ne_u32_e32 vcc_lo, v11, v15
	v_lshlrev_b64_e32 v[6:7], 2, v[6:7]
	s_wait_alu 0xfffd
	v_cndmask_b32_e64 v11, 0, 1, vcc_lo
	v_cmp_ne_u32_e32 vcc_lo, v8, v16
	v_or_b32_e32 v0, v0, v11
	s_wait_alu 0xfffd
	v_cndmask_b32_e64 v8, 0, 1, vcc_lo
	v_cmp_gt_i32_e32 vcc_lo, 1, v10
	v_lshl_or_b32 v11, v12, 12, v2
	s_delay_alu instid0(VALU_DEP_3)
	v_or_b32_e32 v8, v9, v8
	s_wait_alu 0xfffd
	v_cndmask_b32_e32 v0, v14, v0, vcc_lo
	v_cmp_gt_i32_e32 vcc_lo, 1, v12
	s_wait_alu 0xfffd
	v_cndmask_b32_e32 v8, v11, v8, vcc_lo
	v_cmp_ne_u32_e32 vcc_lo, 0, v13
	s_delay_alu instid0(VALU_DEP_2)
	v_and_b32_e32 v13, 7, v8
	s_wait_alu 0xfffd
	v_cndmask_b32_e64 v9, 0, 1, vcc_lo
	v_cmp_ne_u32_e32 vcc_lo, 0, v2
	v_lshrrev_b32_e32 v8, 2, v8
	v_cmp_lt_i32_e64 s1, 5, v13
	v_cmp_eq_u32_e64 s2, 3, v13
	s_wait_alu 0xfffd
	v_cndmask_b32_e64 v2, 0, 1, vcc_lo
	v_lshl_or_b32 v9, v9, 9, 0x7c00
	s_delay_alu instid0(VALU_DEP_2) | instskip(SKIP_2) | instid1(VALU_DEP_2)
	v_lshl_or_b32 v2, v2, 9, 0x7c00
	v_and_b32_e32 v11, 7, v0
	v_lshrrev_b32_e32 v0, 2, v0
	v_cmp_lt_i32_e32 vcc_lo, 5, v11
	v_cmp_eq_u32_e64 s0, 3, v11
	s_delay_alu instid0(VALU_DEP_1)
	s_or_b32 vcc_lo, s0, vcc_lo
	s_wait_alu 0xfffe
	v_add_co_ci_u32_e32 v0, vcc_lo, 0, v0, vcc_lo
	s_or_b32 vcc_lo, s2, s1
	s_wait_alu 0xfffe
	v_add_co_ci_u32_e32 v8, vcc_lo, 0, v8, vcc_lo
	v_cmp_gt_i32_e32 vcc_lo, 31, v10
	s_wait_alu 0xfffd
	v_cndmask_b32_e32 v0, 0x7c00, v0, vcc_lo
	v_cmp_gt_i32_e32 vcc_lo, 31, v12
	s_wait_alu 0xfffd
	v_cndmask_b32_e32 v8, 0x7c00, v8, vcc_lo
	v_cmp_eq_u32_e32 vcc_lo, 0x40f, v10
	s_wait_alu 0xfffd
	v_cndmask_b32_e32 v0, v0, v9, vcc_lo
	v_cmp_eq_u32_e32 vcc_lo, 0x40f, v12
	s_wait_alu 0xfffd
	v_cndmask_b32_e32 v2, v8, v2, vcc_lo
	s_delay_alu instid0(VALU_DEP_3)
	v_and_or_b32 v8, 0x8000, v1, v0
	v_add_co_u32 v0, vcc_lo, s14, v4
	s_wait_alu 0xfffd
	v_add_co_ci_u32_e32 v1, vcc_lo, s15, v5, vcc_lo
	v_and_or_b32 v2, 0x8000, v3, v2
	v_and_b32_e32 v5, 0xffff, v8
	v_add_co_u32 v3, vcc_lo, v0, v6
	s_wait_alu 0xfffd
	v_add_co_ci_u32_e32 v4, vcc_lo, v1, v7, vcc_lo
	s_delay_alu instid0(VALU_DEP_3)
	v_lshl_or_b32 v2, v2, 16, v5
	global_store_b32 v[3:4], v2, off
	global_load_b32 v7, v26, s[12:13] offset:36
	v_lshl_add_u32 v2, v27, 2, v26
	ds_load_2addr_b32 v[5:6], v2 offset0:9 offset1:18
	s_wait_dscnt 0x0
	v_lshrrev_b32_e32 v8, 16, v5
	s_wait_loadcnt 0x0
	v_lshrrev_b32_e32 v9, 16, v7
	s_delay_alu instid0(VALU_DEP_1) | instskip(SKIP_1) | instid1(VALU_DEP_2)
	v_mul_f16_e32 v10, v8, v9
	v_mul_f16_e32 v9, v5, v9
	v_fmac_f16_e32 v10, v5, v7
	s_delay_alu instid0(VALU_DEP_2) | instskip(NEXT) | instid1(VALU_DEP_2)
	v_fma_f16 v5, v7, v8, -v9
	v_cvt_f32_f16_e32 v7, v10
	s_delay_alu instid0(VALU_DEP_2) | instskip(NEXT) | instid1(VALU_DEP_2)
	v_cvt_f32_f16_e32 v5, v5
	v_cvt_f64_f32_e32 v[7:8], v7
	s_delay_alu instid0(VALU_DEP_2) | instskip(NEXT) | instid1(VALU_DEP_2)
	v_cvt_f64_f32_e32 v[9:10], v5
	v_mul_f64_e32 v[7:8], s[8:9], v[7:8]
	s_delay_alu instid0(VALU_DEP_2) | instskip(NEXT) | instid1(VALU_DEP_2)
	v_mul_f64_e32 v[9:10], s[8:9], v[9:10]
	v_and_or_b32 v5, 0x1ff, v8, v7
	s_delay_alu instid0(VALU_DEP_2)
	v_and_or_b32 v9, 0x1ff, v10, v9
	v_lshrrev_b32_e32 v7, 8, v8
	v_bfe_u32 v11, v8, 20, 11
	v_lshrrev_b32_e32 v12, 8, v10
	v_cmp_ne_u32_e32 vcc_lo, 0, v5
	v_bfe_u32 v13, v10, 20, 11
	v_lshrrev_b32_e32 v8, 16, v8
	v_sub_nc_u32_e32 v14, 0x3f1, v11
	v_add_nc_u32_e32 v11, 0xfffffc10, v11
	s_wait_alu 0xfffd
	v_cndmask_b32_e64 v5, 0, 1, vcc_lo
	v_cmp_ne_u32_e32 vcc_lo, 0, v9
	v_lshrrev_b32_e32 v10, 16, v10
	s_delay_alu instid0(VALU_DEP_3) | instskip(SKIP_3) | instid1(VALU_DEP_2)
	v_and_or_b32 v5, 0xffe, v7, v5
	s_wait_alu 0xfffd
	v_cndmask_b32_e64 v9, 0, 1, vcc_lo
	v_sub_nc_u32_e32 v7, 0x3f1, v13
	v_and_or_b32 v9, 0xffe, v12, v9
	v_med3_i32 v12, v14, 0, 13
	v_or_b32_e32 v14, 0x1000, v5
	s_delay_alu instid0(VALU_DEP_4) | instskip(NEXT) | instid1(VALU_DEP_4)
	v_med3_i32 v7, v7, 0, 13
	v_or_b32_e32 v15, 0x1000, v9
	s_delay_alu instid0(VALU_DEP_3) | instskip(NEXT) | instid1(VALU_DEP_2)
	v_lshrrev_b32_e32 v16, v12, v14
	v_lshrrev_b32_e32 v17, v7, v15
	s_delay_alu instid0(VALU_DEP_2) | instskip(NEXT) | instid1(VALU_DEP_2)
	v_lshlrev_b32_e32 v12, v12, v16
	v_lshlrev_b32_e32 v7, v7, v17
	s_delay_alu instid0(VALU_DEP_2) | instskip(SKIP_4) | instid1(VALU_DEP_2)
	v_cmp_ne_u32_e32 vcc_lo, v12, v14
	v_lshl_or_b32 v14, v11, 12, v5
	s_wait_alu 0xfffd
	v_cndmask_b32_e64 v12, 0, 1, vcc_lo
	v_cmp_ne_u32_e32 vcc_lo, v7, v15
	v_or_b32_e32 v12, v16, v12
	s_wait_alu 0xfffd
	v_cndmask_b32_e64 v7, 0, 1, vcc_lo
	v_cmp_gt_i32_e32 vcc_lo, 1, v11
	v_add_nc_u32_e32 v13, 0xfffffc10, v13
	s_delay_alu instid0(VALU_DEP_3) | instskip(SKIP_2) | instid1(VALU_DEP_3)
	v_or_b32_e32 v7, v17, v7
	s_wait_alu 0xfffd
	v_cndmask_b32_e32 v12, v14, v12, vcc_lo
	v_lshl_or_b32 v15, v13, 12, v9
	v_cmp_gt_i32_e32 vcc_lo, 1, v13
	s_wait_alu 0xfffd
	s_delay_alu instid0(VALU_DEP_2) | instskip(SKIP_1) | instid1(VALU_DEP_2)
	v_cndmask_b32_e32 v7, v15, v7, vcc_lo
	v_cmp_ne_u32_e32 vcc_lo, 0, v5
	v_and_b32_e32 v15, 7, v7
	s_wait_alu 0xfffd
	v_cndmask_b32_e64 v5, 0, 1, vcc_lo
	v_cmp_ne_u32_e32 vcc_lo, 0, v9
	v_lshrrev_b32_e32 v7, 2, v7
	v_cmp_lt_i32_e64 s1, 5, v15
	s_delay_alu instid0(VALU_DEP_4)
	v_lshl_or_b32 v5, v5, 9, 0x7c00
	v_and_b32_e32 v14, 7, v12
	s_wait_alu 0xfffd
	v_cndmask_b32_e64 v9, 0, 1, vcc_lo
	v_lshrrev_b32_e32 v12, 2, v12
	v_cmp_eq_u32_e64 s2, 3, v15
	v_cmp_lt_i32_e32 vcc_lo, 5, v14
	v_cmp_eq_u32_e64 s0, 3, v14
	v_lshl_or_b32 v9, v9, 9, 0x7c00
	s_delay_alu instid0(VALU_DEP_2)
	s_or_b32 vcc_lo, s0, vcc_lo
	s_wait_alu 0xfffe
	v_add_co_ci_u32_e32 v12, vcc_lo, 0, v12, vcc_lo
	s_or_b32 vcc_lo, s2, s1
	s_wait_alu 0xfffe
	v_add_co_ci_u32_e32 v7, vcc_lo, 0, v7, vcc_lo
	v_cmp_gt_i32_e32 vcc_lo, 31, v11
	s_wait_alu 0xfffd
	v_cndmask_b32_e32 v12, 0x7c00, v12, vcc_lo
	v_cmp_gt_i32_e32 vcc_lo, 31, v13
	s_wait_alu 0xfffd
	v_cndmask_b32_e32 v7, 0x7c00, v7, vcc_lo
	v_cmp_eq_u32_e32 vcc_lo, 0x40f, v11
	s_wait_alu 0xfffd
	v_cndmask_b32_e32 v5, v12, v5, vcc_lo
	v_cmp_eq_u32_e32 vcc_lo, 0x40f, v13
	s_delay_alu instid0(VALU_DEP_2)
	v_and_or_b32 v5, 0x8000, v8, v5
	s_wait_alu 0xfffd
	v_cndmask_b32_e32 v7, v7, v9, vcc_lo
	v_add_co_u32 v3, vcc_lo, v3, s6
	s_wait_alu 0xfffd
	v_add_co_ci_u32_e32 v4, vcc_lo, s7, v4, vcc_lo
	s_delay_alu instid0(VALU_DEP_3) | instskip(SKIP_1) | instid1(VALU_DEP_1)
	v_and_or_b32 v7, 0x8000, v10, v7
	v_and_b32_e32 v5, 0xffff, v5
	v_lshl_or_b32 v5, v7, 16, v5
	v_lshrrev_b32_e32 v7, 16, v6
	global_store_b32 v[3:4], v5, off
	global_load_b32 v5, v26, s[12:13] offset:72
	s_wait_loadcnt 0x0
	v_lshrrev_b32_e32 v8, 16, v5
	s_delay_alu instid0(VALU_DEP_1) | instskip(SKIP_1) | instid1(VALU_DEP_2)
	v_mul_f16_e32 v9, v7, v8
	v_mul_f16_e32 v8, v6, v8
	v_fmac_f16_e32 v9, v6, v5
	s_delay_alu instid0(VALU_DEP_2) | instskip(NEXT) | instid1(VALU_DEP_2)
	v_fma_f16 v5, v5, v7, -v8
	v_cvt_f32_f16_e32 v6, v9
	s_delay_alu instid0(VALU_DEP_2) | instskip(NEXT) | instid1(VALU_DEP_2)
	v_cvt_f32_f16_e32 v7, v5
	v_cvt_f64_f32_e32 v[5:6], v6
	s_delay_alu instid0(VALU_DEP_2) | instskip(NEXT) | instid1(VALU_DEP_2)
	v_cvt_f64_f32_e32 v[7:8], v7
	v_mul_f64_e32 v[5:6], s[8:9], v[5:6]
	s_delay_alu instid0(VALU_DEP_2) | instskip(NEXT) | instid1(VALU_DEP_2)
	v_mul_f64_e32 v[7:8], s[8:9], v[7:8]
	v_and_or_b32 v5, 0x1ff, v6, v5
	s_delay_alu instid0(VALU_DEP_2)
	v_and_or_b32 v7, 0x1ff, v8, v7
	v_lshrrev_b32_e32 v9, 8, v6
	v_bfe_u32 v10, v6, 20, 11
	v_lshrrev_b32_e32 v11, 8, v8
	v_cmp_ne_u32_e32 vcc_lo, 0, v5
	v_bfe_u32 v12, v8, 20, 11
	v_lshrrev_b32_e32 v6, 16, v6
	v_sub_nc_u32_e32 v13, 0x3f1, v10
	v_lshrrev_b32_e32 v8, 16, v8
	s_wait_alu 0xfffd
	v_cndmask_b32_e64 v5, 0, 1, vcc_lo
	v_cmp_ne_u32_e32 vcc_lo, 0, v7
	s_delay_alu instid0(VALU_DEP_2) | instskip(SKIP_3) | instid1(VALU_DEP_2)
	v_and_or_b32 v5, 0xffe, v9, v5
	s_wait_alu 0xfffd
	v_cndmask_b32_e64 v7, 0, 1, vcc_lo
	v_sub_nc_u32_e32 v9, 0x3f1, v12
	v_and_or_b32 v7, 0xffe, v11, v7
	v_med3_i32 v11, v13, 0, 13
	v_or_b32_e32 v13, 0x1000, v5
	s_delay_alu instid0(VALU_DEP_4) | instskip(NEXT) | instid1(VALU_DEP_4)
	v_med3_i32 v9, v9, 0, 13
	v_or_b32_e32 v14, 0x1000, v7
	s_delay_alu instid0(VALU_DEP_3) | instskip(NEXT) | instid1(VALU_DEP_2)
	v_lshrrev_b32_e32 v15, v11, v13
	v_lshrrev_b32_e32 v16, v9, v14
	s_delay_alu instid0(VALU_DEP_2) | instskip(NEXT) | instid1(VALU_DEP_2)
	v_lshlrev_b32_e32 v11, v11, v15
	v_lshlrev_b32_e32 v9, v9, v16
	s_delay_alu instid0(VALU_DEP_2) | instskip(SKIP_2) | instid1(VALU_DEP_3)
	v_cmp_ne_u32_e32 vcc_lo, v11, v13
	s_wait_alu 0xfffd
	v_cndmask_b32_e64 v11, 0, 1, vcc_lo
	v_cmp_ne_u32_e32 vcc_lo, v9, v14
	s_delay_alu instid0(VALU_DEP_2) | instskip(SKIP_3) | instid1(VALU_DEP_2)
	v_or_b32_e32 v11, v15, v11
	v_add_nc_u32_e32 v10, 0xfffffc10, v10
	s_wait_alu 0xfffd
	v_cndmask_b32_e64 v9, 0, 1, vcc_lo
	v_lshl_or_b32 v13, v10, 12, v5
	s_delay_alu instid0(VALU_DEP_2) | instskip(SKIP_2) | instid1(VALU_DEP_2)
	v_or_b32_e32 v9, v16, v9
	v_add_nc_u32_e32 v12, 0xfffffc10, v12
	v_cmp_gt_i32_e32 vcc_lo, 1, v10
	v_lshl_or_b32 v14, v12, 12, v7
	s_wait_alu 0xfffd
	v_cndmask_b32_e32 v11, v13, v11, vcc_lo
	v_cmp_gt_i32_e32 vcc_lo, 1, v12
	s_delay_alu instid0(VALU_DEP_2)
	v_and_b32_e32 v13, 7, v11
	s_wait_alu 0xfffd
	v_cndmask_b32_e32 v9, v14, v9, vcc_lo
	v_cmp_ne_u32_e32 vcc_lo, 0, v5
	v_lshrrev_b32_e32 v11, 2, v11
	v_cmp_eq_u32_e64 s0, 3, v13
	s_wait_alu 0xfffd
	v_cndmask_b32_e64 v5, 0, 1, vcc_lo
	v_cmp_ne_u32_e32 vcc_lo, 0, v7
	s_delay_alu instid0(VALU_DEP_2) | instskip(SKIP_3) | instid1(VALU_DEP_2)
	v_lshl_or_b32 v5, v5, 9, 0x7c00
	s_wait_alu 0xfffd
	v_cndmask_b32_e64 v7, 0, 1, vcc_lo
	v_cmp_lt_i32_e32 vcc_lo, 5, v13
	v_lshl_or_b32 v7, v7, 9, 0x7c00
	s_or_b32 vcc_lo, s0, vcc_lo
	s_wait_alu 0xfffe
	v_add_co_ci_u32_e32 v11, vcc_lo, 0, v11, vcc_lo
	v_and_b32_e32 v14, 7, v9
	v_lshrrev_b32_e32 v9, 2, v9
	s_delay_alu instid0(VALU_DEP_2) | instskip(SKIP_1) | instid1(VALU_DEP_1)
	v_cmp_lt_i32_e64 s1, 5, v14
	v_cmp_eq_u32_e64 s2, 3, v14
	s_or_b32 vcc_lo, s2, s1
	s_wait_alu 0xfffe
	v_add_co_ci_u32_e32 v9, vcc_lo, 0, v9, vcc_lo
	v_cmp_gt_i32_e32 vcc_lo, 31, v10
	s_wait_alu 0xfffd
	v_cndmask_b32_e32 v11, 0x7c00, v11, vcc_lo
	v_cmp_gt_i32_e32 vcc_lo, 31, v12
	s_wait_alu 0xfffd
	v_cndmask_b32_e32 v9, 0x7c00, v9, vcc_lo
	v_cmp_eq_u32_e32 vcc_lo, 0x40f, v10
	s_wait_alu 0xfffd
	v_cndmask_b32_e32 v5, v11, v5, vcc_lo
	v_cmp_eq_u32_e32 vcc_lo, 0x40f, v12
	s_delay_alu instid0(VALU_DEP_2)
	v_and_or_b32 v5, 0x8000, v6, v5
	s_wait_alu 0xfffd
	v_cndmask_b32_e32 v7, v9, v7, vcc_lo
	v_add_co_u32 v3, vcc_lo, v3, s6
	s_wait_alu 0xfffd
	v_add_co_ci_u32_e32 v4, vcc_lo, s7, v4, vcc_lo
	s_delay_alu instid0(VALU_DEP_3) | instskip(SKIP_1) | instid1(VALU_DEP_1)
	v_and_or_b32 v6, 0x8000, v8, v7
	v_and_b32_e32 v5, 0xffff, v5
	v_lshl_or_b32 v5, v6, 16, v5
	global_store_b32 v[3:4], v5, off
	global_load_b32 v7, v26, s[12:13] offset:108
	ds_load_2addr_b32 v[5:6], v2 offset0:27 offset1:36
	s_wait_dscnt 0x0
	v_lshrrev_b32_e32 v8, 16, v5
	s_wait_loadcnt 0x0
	v_lshrrev_b32_e32 v9, 16, v7
	s_delay_alu instid0(VALU_DEP_1) | instskip(SKIP_1) | instid1(VALU_DEP_2)
	v_mul_f16_e32 v10, v8, v9
	v_mul_f16_e32 v9, v5, v9
	v_fmac_f16_e32 v10, v5, v7
	s_delay_alu instid0(VALU_DEP_2) | instskip(NEXT) | instid1(VALU_DEP_2)
	v_fma_f16 v5, v7, v8, -v9
	v_cvt_f32_f16_e32 v7, v10
	s_delay_alu instid0(VALU_DEP_2) | instskip(NEXT) | instid1(VALU_DEP_2)
	v_cvt_f32_f16_e32 v5, v5
	v_cvt_f64_f32_e32 v[7:8], v7
	s_delay_alu instid0(VALU_DEP_2) | instskip(NEXT) | instid1(VALU_DEP_2)
	v_cvt_f64_f32_e32 v[9:10], v5
	v_mul_f64_e32 v[7:8], s[8:9], v[7:8]
	s_delay_alu instid0(VALU_DEP_2) | instskip(NEXT) | instid1(VALU_DEP_2)
	v_mul_f64_e32 v[9:10], s[8:9], v[9:10]
	v_and_or_b32 v5, 0x1ff, v8, v7
	s_delay_alu instid0(VALU_DEP_2)
	v_and_or_b32 v9, 0x1ff, v10, v9
	v_lshrrev_b32_e32 v7, 8, v8
	v_bfe_u32 v11, v8, 20, 11
	v_lshrrev_b32_e32 v12, 8, v10
	v_cmp_ne_u32_e32 vcc_lo, 0, v5
	v_bfe_u32 v13, v10, 20, 11
	v_lshrrev_b32_e32 v8, 16, v8
	v_sub_nc_u32_e32 v14, 0x3f1, v11
	v_add_nc_u32_e32 v11, 0xfffffc10, v11
	s_wait_alu 0xfffd
	v_cndmask_b32_e64 v5, 0, 1, vcc_lo
	v_cmp_ne_u32_e32 vcc_lo, 0, v9
	v_lshrrev_b32_e32 v10, 16, v10
	s_delay_alu instid0(VALU_DEP_3) | instskip(SKIP_4) | instid1(VALU_DEP_3)
	v_and_or_b32 v5, 0xffe, v7, v5
	s_wait_alu 0xfffd
	v_cndmask_b32_e64 v9, 0, 1, vcc_lo
	v_sub_nc_u32_e32 v7, 0x3f1, v13
	v_add_nc_u32_e32 v13, 0xfffffc10, v13
	v_and_or_b32 v9, 0xffe, v12, v9
	v_med3_i32 v12, v14, 0, 13
	v_or_b32_e32 v14, 0x1000, v5
	v_med3_i32 v7, v7, 0, 13
	s_delay_alu instid0(VALU_DEP_4) | instskip(NEXT) | instid1(VALU_DEP_3)
	v_or_b32_e32 v15, 0x1000, v9
	v_lshrrev_b32_e32 v16, v12, v14
	s_delay_alu instid0(VALU_DEP_2) | instskip(NEXT) | instid1(VALU_DEP_2)
	v_lshrrev_b32_e32 v17, v7, v15
	v_lshlrev_b32_e32 v12, v12, v16
	s_delay_alu instid0(VALU_DEP_2) | instskip(NEXT) | instid1(VALU_DEP_2)
	v_lshlrev_b32_e32 v7, v7, v17
	v_cmp_ne_u32_e32 vcc_lo, v12, v14
	v_lshl_or_b32 v14, v11, 12, v5
	s_wait_alu 0xfffd
	v_cndmask_b32_e64 v12, 0, 1, vcc_lo
	v_cmp_ne_u32_e32 vcc_lo, v7, v15
	v_lshl_or_b32 v15, v13, 12, v9
	s_delay_alu instid0(VALU_DEP_3) | instskip(SKIP_3) | instid1(VALU_DEP_2)
	v_or_b32_e32 v12, v16, v12
	s_wait_alu 0xfffd
	v_cndmask_b32_e64 v7, 0, 1, vcc_lo
	v_cmp_gt_i32_e32 vcc_lo, 1, v11
	v_or_b32_e32 v7, v17, v7
	s_wait_alu 0xfffd
	v_cndmask_b32_e32 v12, v14, v12, vcc_lo
	v_cmp_gt_i32_e32 vcc_lo, 1, v13
	s_wait_alu 0xfffd
	s_delay_alu instid0(VALU_DEP_2) | instskip(SKIP_2) | instid1(VALU_DEP_3)
	v_dual_cndmask_b32 v7, v15, v7 :: v_dual_and_b32 v14, 7, v12
	v_cmp_ne_u32_e32 vcc_lo, 0, v5
	v_lshrrev_b32_e32 v12, 2, v12
	v_cmp_eq_u32_e64 s0, 3, v14
	s_delay_alu instid0(VALU_DEP_4)
	v_and_b32_e32 v15, 7, v7
	s_wait_alu 0xfffd
	v_cndmask_b32_e64 v5, 0, 1, vcc_lo
	v_cmp_ne_u32_e32 vcc_lo, 0, v9
	v_lshrrev_b32_e32 v7, 2, v7
	v_cmp_lt_i32_e64 s1, 5, v15
	v_cmp_eq_u32_e64 s2, 3, v15
	s_wait_alu 0xfffd
	v_cndmask_b32_e64 v9, 0, 1, vcc_lo
	v_cmp_lt_i32_e32 vcc_lo, 5, v14
	v_lshl_or_b32 v5, v5, 9, 0x7c00
	s_delay_alu instid0(VALU_DEP_3)
	v_lshl_or_b32 v9, v9, 9, 0x7c00
	s_or_b32 vcc_lo, s0, vcc_lo
	s_wait_alu 0xfffe
	v_add_co_ci_u32_e32 v12, vcc_lo, 0, v12, vcc_lo
	s_or_b32 vcc_lo, s2, s1
	s_wait_alu 0xfffe
	v_add_co_ci_u32_e32 v7, vcc_lo, 0, v7, vcc_lo
	v_cmp_gt_i32_e32 vcc_lo, 31, v11
	s_wait_alu 0xfffd
	v_cndmask_b32_e32 v12, 0x7c00, v12, vcc_lo
	v_cmp_gt_i32_e32 vcc_lo, 31, v13
	s_wait_alu 0xfffd
	v_cndmask_b32_e32 v7, 0x7c00, v7, vcc_lo
	v_cmp_eq_u32_e32 vcc_lo, 0x40f, v11
	s_wait_alu 0xfffd
	v_cndmask_b32_e32 v5, v12, v5, vcc_lo
	v_cmp_eq_u32_e32 vcc_lo, 0x40f, v13
	s_delay_alu instid0(VALU_DEP_2)
	v_and_or_b32 v5, 0x8000, v8, v5
	s_wait_alu 0xfffd
	v_cndmask_b32_e32 v7, v7, v9, vcc_lo
	v_add_co_u32 v3, vcc_lo, v3, s6
	s_wait_alu 0xfffd
	v_add_co_ci_u32_e32 v4, vcc_lo, s7, v4, vcc_lo
	s_delay_alu instid0(VALU_DEP_3) | instskip(SKIP_1) | instid1(VALU_DEP_1)
	v_and_or_b32 v7, 0x8000, v10, v7
	v_and_b32_e32 v5, 0xffff, v5
	v_lshl_or_b32 v5, v7, 16, v5
	v_lshrrev_b32_e32 v7, 16, v6
	global_store_b32 v[3:4], v5, off
	global_load_b32 v5, v26, s[12:13] offset:144
	s_wait_loadcnt 0x0
	v_lshrrev_b32_e32 v8, 16, v5
	s_delay_alu instid0(VALU_DEP_1) | instskip(SKIP_1) | instid1(VALU_DEP_2)
	v_mul_f16_e32 v9, v7, v8
	v_mul_f16_e32 v8, v6, v8
	v_fmac_f16_e32 v9, v6, v5
	s_delay_alu instid0(VALU_DEP_2) | instskip(NEXT) | instid1(VALU_DEP_2)
	v_fma_f16 v5, v5, v7, -v8
	v_cvt_f32_f16_e32 v6, v9
	s_delay_alu instid0(VALU_DEP_2) | instskip(NEXT) | instid1(VALU_DEP_2)
	v_cvt_f32_f16_e32 v7, v5
	v_cvt_f64_f32_e32 v[5:6], v6
	s_delay_alu instid0(VALU_DEP_2) | instskip(NEXT) | instid1(VALU_DEP_2)
	v_cvt_f64_f32_e32 v[7:8], v7
	v_mul_f64_e32 v[5:6], s[8:9], v[5:6]
	s_delay_alu instid0(VALU_DEP_2) | instskip(NEXT) | instid1(VALU_DEP_2)
	v_mul_f64_e32 v[7:8], s[8:9], v[7:8]
	v_and_or_b32 v5, 0x1ff, v6, v5
	s_delay_alu instid0(VALU_DEP_2)
	v_and_or_b32 v7, 0x1ff, v8, v7
	v_lshrrev_b32_e32 v9, 8, v6
	v_bfe_u32 v10, v6, 20, 11
	v_lshrrev_b32_e32 v11, 8, v8
	v_cmp_ne_u32_e32 vcc_lo, 0, v5
	v_bfe_u32 v12, v8, 20, 11
	v_lshrrev_b32_e32 v6, 16, v6
	v_sub_nc_u32_e32 v13, 0x3f1, v10
	v_add_nc_u32_e32 v10, 0xfffffc10, v10
	s_wait_alu 0xfffd
	v_cndmask_b32_e64 v5, 0, 1, vcc_lo
	v_cmp_ne_u32_e32 vcc_lo, 0, v7
	v_lshrrev_b32_e32 v8, 16, v8
	s_delay_alu instid0(VALU_DEP_3) | instskip(SKIP_4) | instid1(VALU_DEP_3)
	v_and_or_b32 v5, 0xffe, v9, v5
	s_wait_alu 0xfffd
	v_cndmask_b32_e64 v7, 0, 1, vcc_lo
	v_sub_nc_u32_e32 v9, 0x3f1, v12
	v_add_nc_u32_e32 v12, 0xfffffc10, v12
	v_and_or_b32 v7, 0xffe, v11, v7
	v_med3_i32 v11, v13, 0, 13
	v_or_b32_e32 v13, 0x1000, v5
	v_med3_i32 v9, v9, 0, 13
	s_delay_alu instid0(VALU_DEP_4) | instskip(NEXT) | instid1(VALU_DEP_3)
	v_or_b32_e32 v14, 0x1000, v7
	v_lshrrev_b32_e32 v15, v11, v13
	s_delay_alu instid0(VALU_DEP_2) | instskip(NEXT) | instid1(VALU_DEP_2)
	v_lshrrev_b32_e32 v16, v9, v14
	v_lshlrev_b32_e32 v11, v11, v15
	s_delay_alu instid0(VALU_DEP_2) | instskip(NEXT) | instid1(VALU_DEP_2)
	v_lshlrev_b32_e32 v9, v9, v16
	v_cmp_ne_u32_e32 vcc_lo, v11, v13
	v_lshl_or_b32 v13, v10, 12, v5
	s_wait_alu 0xfffd
	v_cndmask_b32_e64 v11, 0, 1, vcc_lo
	v_cmp_ne_u32_e32 vcc_lo, v9, v14
	v_lshl_or_b32 v14, v12, 12, v7
	s_delay_alu instid0(VALU_DEP_3) | instskip(SKIP_3) | instid1(VALU_DEP_2)
	v_or_b32_e32 v11, v15, v11
	s_wait_alu 0xfffd
	v_cndmask_b32_e64 v9, 0, 1, vcc_lo
	v_cmp_gt_i32_e32 vcc_lo, 1, v10
	v_or_b32_e32 v9, v16, v9
	s_wait_alu 0xfffd
	v_cndmask_b32_e32 v11, v13, v11, vcc_lo
	v_cmp_gt_i32_e32 vcc_lo, 1, v12
	s_delay_alu instid0(VALU_DEP_2)
	v_and_b32_e32 v13, 7, v11
	s_wait_alu 0xfffd
	v_cndmask_b32_e32 v9, v14, v9, vcc_lo
	v_cmp_ne_u32_e32 vcc_lo, 0, v5
	v_lshrrev_b32_e32 v11, 2, v11
	v_cmp_eq_u32_e64 s0, 3, v13
	s_delay_alu instid0(VALU_DEP_4)
	v_and_b32_e32 v14, 7, v9
	s_wait_alu 0xfffd
	v_cndmask_b32_e64 v5, 0, 1, vcc_lo
	v_cmp_ne_u32_e32 vcc_lo, 0, v7
	v_lshrrev_b32_e32 v9, 2, v9
	v_cmp_lt_i32_e64 s1, 5, v14
	v_cmp_eq_u32_e64 s2, 3, v14
	s_wait_alu 0xfffd
	v_cndmask_b32_e64 v7, 0, 1, vcc_lo
	v_cmp_lt_i32_e32 vcc_lo, 5, v13
	v_lshl_or_b32 v5, v5, 9, 0x7c00
	s_delay_alu instid0(VALU_DEP_3)
	v_lshl_or_b32 v7, v7, 9, 0x7c00
	s_or_b32 vcc_lo, s0, vcc_lo
	s_wait_alu 0xfffe
	v_add_co_ci_u32_e32 v11, vcc_lo, 0, v11, vcc_lo
	s_or_b32 vcc_lo, s2, s1
	s_wait_alu 0xfffe
	v_add_co_ci_u32_e32 v9, vcc_lo, 0, v9, vcc_lo
	v_cmp_gt_i32_e32 vcc_lo, 31, v10
	s_wait_alu 0xfffd
	v_cndmask_b32_e32 v11, 0x7c00, v11, vcc_lo
	v_cmp_gt_i32_e32 vcc_lo, 31, v12
	s_wait_alu 0xfffd
	v_cndmask_b32_e32 v9, 0x7c00, v9, vcc_lo
	v_cmp_eq_u32_e32 vcc_lo, 0x40f, v10
	s_wait_alu 0xfffd
	v_cndmask_b32_e32 v5, v11, v5, vcc_lo
	v_cmp_eq_u32_e32 vcc_lo, 0x40f, v12
	s_delay_alu instid0(VALU_DEP_2)
	v_and_or_b32 v5, 0x8000, v6, v5
	s_wait_alu 0xfffd
	v_cndmask_b32_e32 v7, v9, v7, vcc_lo
	v_add_co_u32 v3, vcc_lo, v3, s6
	s_wait_alu 0xfffd
	v_add_co_ci_u32_e32 v4, vcc_lo, s7, v4, vcc_lo
	s_delay_alu instid0(VALU_DEP_3) | instskip(SKIP_1) | instid1(VALU_DEP_1)
	v_and_or_b32 v6, 0x8000, v8, v7
	v_and_b32_e32 v5, 0xffff, v5
	v_lshl_or_b32 v5, v6, 16, v5
	global_store_b32 v[3:4], v5, off
	global_load_b32 v7, v26, s[12:13] offset:180
	ds_load_2addr_b32 v[5:6], v2 offset0:45 offset1:54
	s_wait_dscnt 0x0
	v_lshrrev_b32_e32 v8, 16, v5
	s_wait_loadcnt 0x0
	v_lshrrev_b32_e32 v9, 16, v7
	s_delay_alu instid0(VALU_DEP_1) | instskip(SKIP_1) | instid1(VALU_DEP_2)
	v_mul_f16_e32 v10, v8, v9
	v_mul_f16_e32 v9, v5, v9
	v_fmac_f16_e32 v10, v5, v7
	s_delay_alu instid0(VALU_DEP_2) | instskip(NEXT) | instid1(VALU_DEP_2)
	v_fma_f16 v5, v7, v8, -v9
	v_cvt_f32_f16_e32 v7, v10
	s_delay_alu instid0(VALU_DEP_2) | instskip(NEXT) | instid1(VALU_DEP_2)
	v_cvt_f32_f16_e32 v5, v5
	v_cvt_f64_f32_e32 v[7:8], v7
	s_delay_alu instid0(VALU_DEP_2) | instskip(NEXT) | instid1(VALU_DEP_2)
	v_cvt_f64_f32_e32 v[9:10], v5
	v_mul_f64_e32 v[7:8], s[8:9], v[7:8]
	s_delay_alu instid0(VALU_DEP_2) | instskip(NEXT) | instid1(VALU_DEP_2)
	v_mul_f64_e32 v[9:10], s[8:9], v[9:10]
	v_and_or_b32 v5, 0x1ff, v8, v7
	s_delay_alu instid0(VALU_DEP_2)
	v_and_or_b32 v9, 0x1ff, v10, v9
	v_lshrrev_b32_e32 v7, 8, v8
	v_bfe_u32 v11, v8, 20, 11
	v_lshrrev_b32_e32 v12, 8, v10
	v_cmp_ne_u32_e32 vcc_lo, 0, v5
	v_bfe_u32 v13, v10, 20, 11
	v_lshrrev_b32_e32 v8, 16, v8
	v_sub_nc_u32_e32 v14, 0x3f1, v11
	v_add_nc_u32_e32 v11, 0xfffffc10, v11
	s_wait_alu 0xfffd
	v_cndmask_b32_e64 v5, 0, 1, vcc_lo
	v_cmp_ne_u32_e32 vcc_lo, 0, v9
	v_lshrrev_b32_e32 v10, 16, v10
	s_delay_alu instid0(VALU_DEP_3) | instskip(SKIP_4) | instid1(VALU_DEP_3)
	v_and_or_b32 v5, 0xffe, v7, v5
	s_wait_alu 0xfffd
	v_cndmask_b32_e64 v9, 0, 1, vcc_lo
	v_sub_nc_u32_e32 v7, 0x3f1, v13
	v_add_nc_u32_e32 v13, 0xfffffc10, v13
	v_and_or_b32 v9, 0xffe, v12, v9
	v_med3_i32 v12, v14, 0, 13
	v_or_b32_e32 v14, 0x1000, v5
	v_med3_i32 v7, v7, 0, 13
	s_delay_alu instid0(VALU_DEP_4) | instskip(NEXT) | instid1(VALU_DEP_3)
	v_or_b32_e32 v15, 0x1000, v9
	v_lshrrev_b32_e32 v16, v12, v14
	s_delay_alu instid0(VALU_DEP_2) | instskip(NEXT) | instid1(VALU_DEP_2)
	v_lshrrev_b32_e32 v17, v7, v15
	v_lshlrev_b32_e32 v12, v12, v16
	s_delay_alu instid0(VALU_DEP_2) | instskip(NEXT) | instid1(VALU_DEP_2)
	v_lshlrev_b32_e32 v7, v7, v17
	v_cmp_ne_u32_e32 vcc_lo, v12, v14
	v_lshl_or_b32 v14, v11, 12, v5
	s_wait_alu 0xfffd
	v_cndmask_b32_e64 v12, 0, 1, vcc_lo
	v_cmp_ne_u32_e32 vcc_lo, v7, v15
	v_lshl_or_b32 v15, v13, 12, v9
	s_delay_alu instid0(VALU_DEP_3) | instskip(SKIP_3) | instid1(VALU_DEP_2)
	v_or_b32_e32 v12, v16, v12
	s_wait_alu 0xfffd
	v_cndmask_b32_e64 v7, 0, 1, vcc_lo
	v_cmp_gt_i32_e32 vcc_lo, 1, v11
	v_or_b32_e32 v7, v17, v7
	s_wait_alu 0xfffd
	v_cndmask_b32_e32 v12, v14, v12, vcc_lo
	v_cmp_gt_i32_e32 vcc_lo, 1, v13
	s_wait_alu 0xfffd
	s_delay_alu instid0(VALU_DEP_2) | instskip(SKIP_2) | instid1(VALU_DEP_3)
	v_dual_cndmask_b32 v7, v15, v7 :: v_dual_and_b32 v14, 7, v12
	v_cmp_ne_u32_e32 vcc_lo, 0, v5
	v_lshrrev_b32_e32 v12, 2, v12
	v_cmp_eq_u32_e64 s0, 3, v14
	s_delay_alu instid0(VALU_DEP_4)
	v_and_b32_e32 v15, 7, v7
	s_wait_alu 0xfffd
	v_cndmask_b32_e64 v5, 0, 1, vcc_lo
	v_cmp_ne_u32_e32 vcc_lo, 0, v9
	v_lshrrev_b32_e32 v7, 2, v7
	v_cmp_lt_i32_e64 s1, 5, v15
	v_cmp_eq_u32_e64 s2, 3, v15
	s_wait_alu 0xfffd
	v_cndmask_b32_e64 v9, 0, 1, vcc_lo
	v_cmp_lt_i32_e32 vcc_lo, 5, v14
	v_lshl_or_b32 v5, v5, 9, 0x7c00
	s_delay_alu instid0(VALU_DEP_3)
	v_lshl_or_b32 v9, v9, 9, 0x7c00
	s_or_b32 vcc_lo, s0, vcc_lo
	s_wait_alu 0xfffe
	v_add_co_ci_u32_e32 v12, vcc_lo, 0, v12, vcc_lo
	s_or_b32 vcc_lo, s2, s1
	s_wait_alu 0xfffe
	v_add_co_ci_u32_e32 v7, vcc_lo, 0, v7, vcc_lo
	v_cmp_gt_i32_e32 vcc_lo, 31, v11
	s_wait_alu 0xfffd
	v_cndmask_b32_e32 v12, 0x7c00, v12, vcc_lo
	v_cmp_gt_i32_e32 vcc_lo, 31, v13
	s_wait_alu 0xfffd
	v_cndmask_b32_e32 v7, 0x7c00, v7, vcc_lo
	v_cmp_eq_u32_e32 vcc_lo, 0x40f, v11
	s_wait_alu 0xfffd
	v_cndmask_b32_e32 v5, v12, v5, vcc_lo
	v_cmp_eq_u32_e32 vcc_lo, 0x40f, v13
	s_delay_alu instid0(VALU_DEP_2)
	v_and_or_b32 v5, 0x8000, v8, v5
	s_wait_alu 0xfffd
	v_cndmask_b32_e32 v7, v7, v9, vcc_lo
	v_add_co_u32 v3, vcc_lo, v3, s6
	s_wait_alu 0xfffd
	v_add_co_ci_u32_e32 v4, vcc_lo, s7, v4, vcc_lo
	s_delay_alu instid0(VALU_DEP_3) | instskip(SKIP_1) | instid1(VALU_DEP_1)
	v_and_or_b32 v7, 0x8000, v10, v7
	v_and_b32_e32 v5, 0xffff, v5
	v_lshl_or_b32 v5, v7, 16, v5
	v_lshrrev_b32_e32 v7, 16, v6
	global_store_b32 v[3:4], v5, off
	global_load_b32 v5, v26, s[12:13] offset:216
	s_wait_loadcnt 0x0
	v_lshrrev_b32_e32 v8, 16, v5
	s_delay_alu instid0(VALU_DEP_1) | instskip(SKIP_1) | instid1(VALU_DEP_2)
	v_mul_f16_e32 v9, v7, v8
	v_mul_f16_e32 v8, v6, v8
	v_fmac_f16_e32 v9, v6, v5
	s_delay_alu instid0(VALU_DEP_2) | instskip(NEXT) | instid1(VALU_DEP_2)
	v_fma_f16 v5, v5, v7, -v8
	v_cvt_f32_f16_e32 v6, v9
	s_delay_alu instid0(VALU_DEP_2) | instskip(NEXT) | instid1(VALU_DEP_2)
	v_cvt_f32_f16_e32 v7, v5
	v_cvt_f64_f32_e32 v[5:6], v6
	s_delay_alu instid0(VALU_DEP_2) | instskip(NEXT) | instid1(VALU_DEP_2)
	v_cvt_f64_f32_e32 v[7:8], v7
	v_mul_f64_e32 v[5:6], s[8:9], v[5:6]
	s_delay_alu instid0(VALU_DEP_2) | instskip(NEXT) | instid1(VALU_DEP_2)
	v_mul_f64_e32 v[7:8], s[8:9], v[7:8]
	v_and_or_b32 v5, 0x1ff, v6, v5
	s_delay_alu instid0(VALU_DEP_2)
	v_and_or_b32 v7, 0x1ff, v8, v7
	v_lshrrev_b32_e32 v9, 8, v6
	v_bfe_u32 v10, v6, 20, 11
	v_lshrrev_b32_e32 v11, 8, v8
	v_cmp_ne_u32_e32 vcc_lo, 0, v5
	v_bfe_u32 v12, v8, 20, 11
	v_lshrrev_b32_e32 v6, 16, v6
	v_sub_nc_u32_e32 v13, 0x3f1, v10
	v_add_nc_u32_e32 v10, 0xfffffc10, v10
	s_wait_alu 0xfffd
	v_cndmask_b32_e64 v5, 0, 1, vcc_lo
	v_cmp_ne_u32_e32 vcc_lo, 0, v7
	v_lshrrev_b32_e32 v8, 16, v8
	s_delay_alu instid0(VALU_DEP_3) | instskip(SKIP_4) | instid1(VALU_DEP_3)
	v_and_or_b32 v5, 0xffe, v9, v5
	s_wait_alu 0xfffd
	v_cndmask_b32_e64 v7, 0, 1, vcc_lo
	v_sub_nc_u32_e32 v9, 0x3f1, v12
	v_add_nc_u32_e32 v12, 0xfffffc10, v12
	v_and_or_b32 v7, 0xffe, v11, v7
	v_med3_i32 v11, v13, 0, 13
	v_or_b32_e32 v13, 0x1000, v5
	v_med3_i32 v9, v9, 0, 13
	s_delay_alu instid0(VALU_DEP_4) | instskip(NEXT) | instid1(VALU_DEP_3)
	v_or_b32_e32 v14, 0x1000, v7
	v_lshrrev_b32_e32 v15, v11, v13
	s_delay_alu instid0(VALU_DEP_2) | instskip(NEXT) | instid1(VALU_DEP_2)
	v_lshrrev_b32_e32 v16, v9, v14
	v_lshlrev_b32_e32 v11, v11, v15
	s_delay_alu instid0(VALU_DEP_2) | instskip(NEXT) | instid1(VALU_DEP_2)
	v_lshlrev_b32_e32 v9, v9, v16
	v_cmp_ne_u32_e32 vcc_lo, v11, v13
	v_lshl_or_b32 v13, v10, 12, v5
	s_wait_alu 0xfffd
	v_cndmask_b32_e64 v11, 0, 1, vcc_lo
	v_cmp_ne_u32_e32 vcc_lo, v9, v14
	v_lshl_or_b32 v14, v12, 12, v7
	s_delay_alu instid0(VALU_DEP_3) | instskip(SKIP_3) | instid1(VALU_DEP_2)
	v_or_b32_e32 v11, v15, v11
	s_wait_alu 0xfffd
	v_cndmask_b32_e64 v9, 0, 1, vcc_lo
	v_cmp_gt_i32_e32 vcc_lo, 1, v10
	v_or_b32_e32 v9, v16, v9
	s_wait_alu 0xfffd
	v_cndmask_b32_e32 v11, v13, v11, vcc_lo
	v_cmp_gt_i32_e32 vcc_lo, 1, v12
	s_delay_alu instid0(VALU_DEP_2)
	v_and_b32_e32 v13, 7, v11
	s_wait_alu 0xfffd
	v_cndmask_b32_e32 v9, v14, v9, vcc_lo
	v_cmp_ne_u32_e32 vcc_lo, 0, v5
	v_lshrrev_b32_e32 v11, 2, v11
	v_cmp_eq_u32_e64 s0, 3, v13
	s_delay_alu instid0(VALU_DEP_4)
	v_and_b32_e32 v14, 7, v9
	s_wait_alu 0xfffd
	v_cndmask_b32_e64 v5, 0, 1, vcc_lo
	v_cmp_ne_u32_e32 vcc_lo, 0, v7
	v_lshrrev_b32_e32 v9, 2, v9
	v_cmp_lt_i32_e64 s1, 5, v14
	v_cmp_eq_u32_e64 s2, 3, v14
	s_wait_alu 0xfffd
	v_cndmask_b32_e64 v7, 0, 1, vcc_lo
	v_cmp_lt_i32_e32 vcc_lo, 5, v13
	v_lshl_or_b32 v5, v5, 9, 0x7c00
	s_delay_alu instid0(VALU_DEP_3)
	v_lshl_or_b32 v7, v7, 9, 0x7c00
	s_or_b32 vcc_lo, s0, vcc_lo
	s_wait_alu 0xfffe
	v_add_co_ci_u32_e32 v11, vcc_lo, 0, v11, vcc_lo
	s_or_b32 vcc_lo, s2, s1
	s_wait_alu 0xfffe
	v_add_co_ci_u32_e32 v9, vcc_lo, 0, v9, vcc_lo
	v_cmp_gt_i32_e32 vcc_lo, 31, v10
	s_wait_alu 0xfffd
	v_cndmask_b32_e32 v11, 0x7c00, v11, vcc_lo
	v_cmp_gt_i32_e32 vcc_lo, 31, v12
	s_wait_alu 0xfffd
	v_cndmask_b32_e32 v9, 0x7c00, v9, vcc_lo
	v_cmp_eq_u32_e32 vcc_lo, 0x40f, v10
	s_wait_alu 0xfffd
	v_cndmask_b32_e32 v5, v11, v5, vcc_lo
	v_cmp_eq_u32_e32 vcc_lo, 0x40f, v12
	s_delay_alu instid0(VALU_DEP_2)
	v_and_or_b32 v5, 0x8000, v6, v5
	s_wait_alu 0xfffd
	v_cndmask_b32_e32 v7, v9, v7, vcc_lo
	v_add_co_u32 v3, vcc_lo, v3, s6
	s_wait_alu 0xfffd
	v_add_co_ci_u32_e32 v4, vcc_lo, s7, v4, vcc_lo
	s_delay_alu instid0(VALU_DEP_3) | instskip(SKIP_1) | instid1(VALU_DEP_1)
	v_and_or_b32 v6, 0x8000, v8, v7
	v_and_b32_e32 v5, 0xffff, v5
	v_lshl_or_b32 v5, v6, 16, v5
	global_store_b32 v[3:4], v5, off
	global_load_b32 v7, v26, s[12:13] offset:252
	ds_load_2addr_b32 v[5:6], v2 offset0:63 offset1:72
	s_wait_dscnt 0x0
	v_lshrrev_b32_e32 v8, 16, v5
	s_wait_loadcnt 0x0
	v_lshrrev_b32_e32 v9, 16, v7
	s_delay_alu instid0(VALU_DEP_1) | instskip(SKIP_1) | instid1(VALU_DEP_2)
	v_mul_f16_e32 v10, v8, v9
	v_mul_f16_e32 v9, v5, v9
	v_fmac_f16_e32 v10, v5, v7
	s_delay_alu instid0(VALU_DEP_2) | instskip(NEXT) | instid1(VALU_DEP_2)
	v_fma_f16 v5, v7, v8, -v9
	v_cvt_f32_f16_e32 v7, v10
	s_delay_alu instid0(VALU_DEP_2) | instskip(NEXT) | instid1(VALU_DEP_2)
	v_cvt_f32_f16_e32 v5, v5
	v_cvt_f64_f32_e32 v[7:8], v7
	s_delay_alu instid0(VALU_DEP_2) | instskip(NEXT) | instid1(VALU_DEP_2)
	v_cvt_f64_f32_e32 v[9:10], v5
	v_mul_f64_e32 v[7:8], s[8:9], v[7:8]
	s_delay_alu instid0(VALU_DEP_2) | instskip(NEXT) | instid1(VALU_DEP_2)
	v_mul_f64_e32 v[9:10], s[8:9], v[9:10]
	v_and_or_b32 v5, 0x1ff, v8, v7
	s_delay_alu instid0(VALU_DEP_2)
	v_and_or_b32 v9, 0x1ff, v10, v9
	v_lshrrev_b32_e32 v7, 8, v8
	v_bfe_u32 v11, v8, 20, 11
	v_lshrrev_b32_e32 v12, 8, v10
	v_cmp_ne_u32_e32 vcc_lo, 0, v5
	v_bfe_u32 v13, v10, 20, 11
	v_lshrrev_b32_e32 v8, 16, v8
	v_sub_nc_u32_e32 v14, 0x3f1, v11
	v_add_nc_u32_e32 v11, 0xfffffc10, v11
	s_wait_alu 0xfffd
	v_cndmask_b32_e64 v5, 0, 1, vcc_lo
	v_cmp_ne_u32_e32 vcc_lo, 0, v9
	v_lshrrev_b32_e32 v10, 16, v10
	s_delay_alu instid0(VALU_DEP_3) | instskip(SKIP_4) | instid1(VALU_DEP_3)
	v_and_or_b32 v5, 0xffe, v7, v5
	s_wait_alu 0xfffd
	v_cndmask_b32_e64 v9, 0, 1, vcc_lo
	v_sub_nc_u32_e32 v7, 0x3f1, v13
	v_add_nc_u32_e32 v13, 0xfffffc10, v13
	v_and_or_b32 v9, 0xffe, v12, v9
	v_med3_i32 v12, v14, 0, 13
	v_or_b32_e32 v14, 0x1000, v5
	v_med3_i32 v7, v7, 0, 13
	s_delay_alu instid0(VALU_DEP_4) | instskip(NEXT) | instid1(VALU_DEP_3)
	v_or_b32_e32 v15, 0x1000, v9
	v_lshrrev_b32_e32 v16, v12, v14
	s_delay_alu instid0(VALU_DEP_2) | instskip(NEXT) | instid1(VALU_DEP_2)
	v_lshrrev_b32_e32 v17, v7, v15
	v_lshlrev_b32_e32 v12, v12, v16
	s_delay_alu instid0(VALU_DEP_2) | instskip(NEXT) | instid1(VALU_DEP_2)
	v_lshlrev_b32_e32 v7, v7, v17
	v_cmp_ne_u32_e32 vcc_lo, v12, v14
	v_lshl_or_b32 v14, v11, 12, v5
	s_wait_alu 0xfffd
	v_cndmask_b32_e64 v12, 0, 1, vcc_lo
	v_cmp_ne_u32_e32 vcc_lo, v7, v15
	v_lshl_or_b32 v15, v13, 12, v9
	s_delay_alu instid0(VALU_DEP_3) | instskip(SKIP_3) | instid1(VALU_DEP_2)
	v_or_b32_e32 v12, v16, v12
	s_wait_alu 0xfffd
	v_cndmask_b32_e64 v7, 0, 1, vcc_lo
	v_cmp_gt_i32_e32 vcc_lo, 1, v11
	v_or_b32_e32 v7, v17, v7
	s_wait_alu 0xfffd
	v_cndmask_b32_e32 v12, v14, v12, vcc_lo
	v_cmp_gt_i32_e32 vcc_lo, 1, v13
	s_wait_alu 0xfffd
	s_delay_alu instid0(VALU_DEP_2) | instskip(SKIP_2) | instid1(VALU_DEP_3)
	v_dual_cndmask_b32 v7, v15, v7 :: v_dual_and_b32 v14, 7, v12
	v_cmp_ne_u32_e32 vcc_lo, 0, v5
	v_lshrrev_b32_e32 v12, 2, v12
	v_cmp_eq_u32_e64 s0, 3, v14
	s_delay_alu instid0(VALU_DEP_4)
	v_and_b32_e32 v15, 7, v7
	s_wait_alu 0xfffd
	v_cndmask_b32_e64 v5, 0, 1, vcc_lo
	v_cmp_ne_u32_e32 vcc_lo, 0, v9
	v_lshrrev_b32_e32 v7, 2, v7
	v_cmp_lt_i32_e64 s1, 5, v15
	v_cmp_eq_u32_e64 s2, 3, v15
	s_wait_alu 0xfffd
	v_cndmask_b32_e64 v9, 0, 1, vcc_lo
	v_cmp_lt_i32_e32 vcc_lo, 5, v14
	v_lshl_or_b32 v5, v5, 9, 0x7c00
	s_delay_alu instid0(VALU_DEP_3)
	v_lshl_or_b32 v9, v9, 9, 0x7c00
	s_or_b32 vcc_lo, s0, vcc_lo
	s_wait_alu 0xfffe
	v_add_co_ci_u32_e32 v12, vcc_lo, 0, v12, vcc_lo
	s_or_b32 vcc_lo, s2, s1
	s_wait_alu 0xfffe
	v_add_co_ci_u32_e32 v7, vcc_lo, 0, v7, vcc_lo
	v_cmp_gt_i32_e32 vcc_lo, 31, v11
	s_wait_alu 0xfffd
	v_cndmask_b32_e32 v12, 0x7c00, v12, vcc_lo
	v_cmp_gt_i32_e32 vcc_lo, 31, v13
	s_wait_alu 0xfffd
	v_cndmask_b32_e32 v7, 0x7c00, v7, vcc_lo
	v_cmp_eq_u32_e32 vcc_lo, 0x40f, v11
	s_wait_alu 0xfffd
	v_cndmask_b32_e32 v5, v12, v5, vcc_lo
	v_cmp_eq_u32_e32 vcc_lo, 0x40f, v13
	s_delay_alu instid0(VALU_DEP_2)
	v_and_or_b32 v5, 0x8000, v8, v5
	s_wait_alu 0xfffd
	v_cndmask_b32_e32 v7, v7, v9, vcc_lo
	v_add_co_u32 v3, vcc_lo, v3, s6
	s_wait_alu 0xfffd
	v_add_co_ci_u32_e32 v4, vcc_lo, s7, v4, vcc_lo
	s_delay_alu instid0(VALU_DEP_3) | instskip(SKIP_1) | instid1(VALU_DEP_1)
	v_and_or_b32 v7, 0x8000, v10, v7
	v_and_b32_e32 v5, 0xffff, v5
	v_lshl_or_b32 v5, v7, 16, v5
	v_lshrrev_b32_e32 v7, 16, v6
	global_store_b32 v[3:4], v5, off
	global_load_b32 v5, v26, s[12:13] offset:288
	s_wait_loadcnt 0x0
	v_lshrrev_b32_e32 v8, 16, v5
	s_delay_alu instid0(VALU_DEP_1) | instskip(SKIP_1) | instid1(VALU_DEP_2)
	v_mul_f16_e32 v9, v7, v8
	v_mul_f16_e32 v8, v6, v8
	v_fmac_f16_e32 v9, v6, v5
	s_delay_alu instid0(VALU_DEP_2) | instskip(NEXT) | instid1(VALU_DEP_2)
	v_fma_f16 v5, v5, v7, -v8
	v_cvt_f32_f16_e32 v6, v9
	s_delay_alu instid0(VALU_DEP_2) | instskip(NEXT) | instid1(VALU_DEP_2)
	v_cvt_f32_f16_e32 v7, v5
	v_cvt_f64_f32_e32 v[5:6], v6
	s_delay_alu instid0(VALU_DEP_2) | instskip(NEXT) | instid1(VALU_DEP_2)
	v_cvt_f64_f32_e32 v[7:8], v7
	v_mul_f64_e32 v[5:6], s[8:9], v[5:6]
	s_delay_alu instid0(VALU_DEP_2) | instskip(NEXT) | instid1(VALU_DEP_2)
	v_mul_f64_e32 v[7:8], s[8:9], v[7:8]
	v_and_or_b32 v5, 0x1ff, v6, v5
	s_delay_alu instid0(VALU_DEP_2)
	v_and_or_b32 v7, 0x1ff, v8, v7
	v_lshrrev_b32_e32 v9, 8, v6
	v_bfe_u32 v10, v6, 20, 11
	v_lshrrev_b32_e32 v11, 8, v8
	v_cmp_ne_u32_e32 vcc_lo, 0, v5
	v_bfe_u32 v12, v8, 20, 11
	v_lshrrev_b32_e32 v6, 16, v6
	v_sub_nc_u32_e32 v13, 0x3f1, v10
	v_add_nc_u32_e32 v10, 0xfffffc10, v10
	s_wait_alu 0xfffd
	v_cndmask_b32_e64 v5, 0, 1, vcc_lo
	v_cmp_ne_u32_e32 vcc_lo, 0, v7
	v_lshrrev_b32_e32 v8, 16, v8
	s_delay_alu instid0(VALU_DEP_3) | instskip(SKIP_4) | instid1(VALU_DEP_3)
	v_and_or_b32 v5, 0xffe, v9, v5
	s_wait_alu 0xfffd
	v_cndmask_b32_e64 v7, 0, 1, vcc_lo
	v_sub_nc_u32_e32 v9, 0x3f1, v12
	v_add_nc_u32_e32 v12, 0xfffffc10, v12
	v_and_or_b32 v7, 0xffe, v11, v7
	v_med3_i32 v11, v13, 0, 13
	v_or_b32_e32 v13, 0x1000, v5
	v_med3_i32 v9, v9, 0, 13
	s_delay_alu instid0(VALU_DEP_4) | instskip(NEXT) | instid1(VALU_DEP_3)
	v_or_b32_e32 v14, 0x1000, v7
	v_lshrrev_b32_e32 v15, v11, v13
	s_delay_alu instid0(VALU_DEP_2) | instskip(NEXT) | instid1(VALU_DEP_2)
	v_lshrrev_b32_e32 v16, v9, v14
	v_lshlrev_b32_e32 v11, v11, v15
	s_delay_alu instid0(VALU_DEP_2) | instskip(NEXT) | instid1(VALU_DEP_2)
	v_lshlrev_b32_e32 v9, v9, v16
	v_cmp_ne_u32_e32 vcc_lo, v11, v13
	v_lshl_or_b32 v13, v10, 12, v5
	s_wait_alu 0xfffd
	v_cndmask_b32_e64 v11, 0, 1, vcc_lo
	v_cmp_ne_u32_e32 vcc_lo, v9, v14
	v_lshl_or_b32 v14, v12, 12, v7
	s_delay_alu instid0(VALU_DEP_3) | instskip(SKIP_3) | instid1(VALU_DEP_2)
	v_or_b32_e32 v11, v15, v11
	s_wait_alu 0xfffd
	v_cndmask_b32_e64 v9, 0, 1, vcc_lo
	v_cmp_gt_i32_e32 vcc_lo, 1, v10
	v_or_b32_e32 v9, v16, v9
	s_wait_alu 0xfffd
	v_cndmask_b32_e32 v11, v13, v11, vcc_lo
	v_cmp_gt_i32_e32 vcc_lo, 1, v12
	s_delay_alu instid0(VALU_DEP_2)
	v_and_b32_e32 v13, 7, v11
	s_wait_alu 0xfffd
	v_cndmask_b32_e32 v9, v14, v9, vcc_lo
	v_cmp_ne_u32_e32 vcc_lo, 0, v5
	v_lshrrev_b32_e32 v11, 2, v11
	v_cmp_eq_u32_e64 s0, 3, v13
	s_delay_alu instid0(VALU_DEP_4)
	v_and_b32_e32 v14, 7, v9
	s_wait_alu 0xfffd
	v_cndmask_b32_e64 v5, 0, 1, vcc_lo
	v_cmp_ne_u32_e32 vcc_lo, 0, v7
	v_lshrrev_b32_e32 v9, 2, v9
	v_cmp_lt_i32_e64 s1, 5, v14
	v_cmp_eq_u32_e64 s2, 3, v14
	s_wait_alu 0xfffd
	v_cndmask_b32_e64 v7, 0, 1, vcc_lo
	v_cmp_lt_i32_e32 vcc_lo, 5, v13
	v_lshl_or_b32 v5, v5, 9, 0x7c00
	s_delay_alu instid0(VALU_DEP_3)
	v_lshl_or_b32 v7, v7, 9, 0x7c00
	s_or_b32 vcc_lo, s0, vcc_lo
	s_wait_alu 0xfffe
	v_add_co_ci_u32_e32 v11, vcc_lo, 0, v11, vcc_lo
	s_or_b32 vcc_lo, s2, s1
	s_wait_alu 0xfffe
	v_add_co_ci_u32_e32 v9, vcc_lo, 0, v9, vcc_lo
	v_cmp_gt_i32_e32 vcc_lo, 31, v10
	s_wait_alu 0xfffd
	v_cndmask_b32_e32 v11, 0x7c00, v11, vcc_lo
	v_cmp_gt_i32_e32 vcc_lo, 31, v12
	s_wait_alu 0xfffd
	v_cndmask_b32_e32 v9, 0x7c00, v9, vcc_lo
	v_cmp_eq_u32_e32 vcc_lo, 0x40f, v10
	s_wait_alu 0xfffd
	v_cndmask_b32_e32 v5, v11, v5, vcc_lo
	v_cmp_eq_u32_e32 vcc_lo, 0x40f, v12
	s_delay_alu instid0(VALU_DEP_2)
	v_and_or_b32 v5, 0x8000, v6, v5
	s_wait_alu 0xfffd
	v_cndmask_b32_e32 v7, v9, v7, vcc_lo
	v_add_co_u32 v3, vcc_lo, v3, s6
	s_wait_alu 0xfffd
	v_add_co_ci_u32_e32 v4, vcc_lo, s7, v4, vcc_lo
	s_delay_alu instid0(VALU_DEP_3) | instskip(SKIP_1) | instid1(VALU_DEP_1)
	v_and_or_b32 v6, 0x8000, v8, v7
	v_and_b32_e32 v5, 0xffff, v5
	v_lshl_or_b32 v5, v6, 16, v5
	global_store_b32 v[3:4], v5, off
	global_load_b32 v7, v26, s[12:13] offset:324
	ds_load_2addr_b32 v[5:6], v2 offset0:81 offset1:90
	s_wait_dscnt 0x0
	v_lshrrev_b32_e32 v8, 16, v5
	s_wait_loadcnt 0x0
	v_lshrrev_b32_e32 v9, 16, v7
	s_delay_alu instid0(VALU_DEP_1) | instskip(SKIP_1) | instid1(VALU_DEP_2)
	v_mul_f16_e32 v10, v8, v9
	v_mul_f16_e32 v9, v5, v9
	v_fmac_f16_e32 v10, v5, v7
	s_delay_alu instid0(VALU_DEP_2) | instskip(NEXT) | instid1(VALU_DEP_2)
	v_fma_f16 v5, v7, v8, -v9
	v_cvt_f32_f16_e32 v7, v10
	s_delay_alu instid0(VALU_DEP_2) | instskip(NEXT) | instid1(VALU_DEP_2)
	v_cvt_f32_f16_e32 v5, v5
	v_cvt_f64_f32_e32 v[7:8], v7
	s_delay_alu instid0(VALU_DEP_2) | instskip(NEXT) | instid1(VALU_DEP_2)
	v_cvt_f64_f32_e32 v[9:10], v5
	v_mul_f64_e32 v[7:8], s[8:9], v[7:8]
	s_delay_alu instid0(VALU_DEP_2) | instskip(NEXT) | instid1(VALU_DEP_2)
	v_mul_f64_e32 v[9:10], s[8:9], v[9:10]
	v_and_or_b32 v5, 0x1ff, v8, v7
	s_delay_alu instid0(VALU_DEP_2)
	v_and_or_b32 v9, 0x1ff, v10, v9
	v_lshrrev_b32_e32 v7, 8, v8
	v_bfe_u32 v11, v8, 20, 11
	v_lshrrev_b32_e32 v12, 8, v10
	v_cmp_ne_u32_e32 vcc_lo, 0, v5
	v_bfe_u32 v13, v10, 20, 11
	v_lshrrev_b32_e32 v8, 16, v8
	v_sub_nc_u32_e32 v14, 0x3f1, v11
	v_add_nc_u32_e32 v11, 0xfffffc10, v11
	s_wait_alu 0xfffd
	v_cndmask_b32_e64 v5, 0, 1, vcc_lo
	v_cmp_ne_u32_e32 vcc_lo, 0, v9
	v_lshrrev_b32_e32 v10, 16, v10
	s_delay_alu instid0(VALU_DEP_3) | instskip(SKIP_4) | instid1(VALU_DEP_3)
	v_and_or_b32 v5, 0xffe, v7, v5
	s_wait_alu 0xfffd
	v_cndmask_b32_e64 v9, 0, 1, vcc_lo
	v_sub_nc_u32_e32 v7, 0x3f1, v13
	v_add_nc_u32_e32 v13, 0xfffffc10, v13
	v_and_or_b32 v9, 0xffe, v12, v9
	v_med3_i32 v12, v14, 0, 13
	v_or_b32_e32 v14, 0x1000, v5
	v_med3_i32 v7, v7, 0, 13
	s_delay_alu instid0(VALU_DEP_4) | instskip(NEXT) | instid1(VALU_DEP_3)
	v_or_b32_e32 v15, 0x1000, v9
	v_lshrrev_b32_e32 v16, v12, v14
	s_delay_alu instid0(VALU_DEP_2) | instskip(NEXT) | instid1(VALU_DEP_2)
	v_lshrrev_b32_e32 v17, v7, v15
	v_lshlrev_b32_e32 v12, v12, v16
	s_delay_alu instid0(VALU_DEP_2) | instskip(NEXT) | instid1(VALU_DEP_2)
	v_lshlrev_b32_e32 v7, v7, v17
	v_cmp_ne_u32_e32 vcc_lo, v12, v14
	v_lshl_or_b32 v14, v11, 12, v5
	s_wait_alu 0xfffd
	v_cndmask_b32_e64 v12, 0, 1, vcc_lo
	v_cmp_ne_u32_e32 vcc_lo, v7, v15
	v_lshl_or_b32 v15, v13, 12, v9
	s_delay_alu instid0(VALU_DEP_3) | instskip(SKIP_3) | instid1(VALU_DEP_2)
	v_or_b32_e32 v12, v16, v12
	s_wait_alu 0xfffd
	v_cndmask_b32_e64 v7, 0, 1, vcc_lo
	v_cmp_gt_i32_e32 vcc_lo, 1, v11
	v_or_b32_e32 v7, v17, v7
	s_wait_alu 0xfffd
	v_cndmask_b32_e32 v12, v14, v12, vcc_lo
	v_cmp_gt_i32_e32 vcc_lo, 1, v13
	s_wait_alu 0xfffd
	s_delay_alu instid0(VALU_DEP_2) | instskip(SKIP_2) | instid1(VALU_DEP_3)
	v_dual_cndmask_b32 v7, v15, v7 :: v_dual_and_b32 v14, 7, v12
	v_cmp_ne_u32_e32 vcc_lo, 0, v5
	v_lshrrev_b32_e32 v12, 2, v12
	v_cmp_eq_u32_e64 s0, 3, v14
	s_delay_alu instid0(VALU_DEP_4)
	v_and_b32_e32 v15, 7, v7
	s_wait_alu 0xfffd
	v_cndmask_b32_e64 v5, 0, 1, vcc_lo
	v_cmp_ne_u32_e32 vcc_lo, 0, v9
	v_lshrrev_b32_e32 v7, 2, v7
	v_cmp_lt_i32_e64 s1, 5, v15
	v_cmp_eq_u32_e64 s2, 3, v15
	s_wait_alu 0xfffd
	v_cndmask_b32_e64 v9, 0, 1, vcc_lo
	v_cmp_lt_i32_e32 vcc_lo, 5, v14
	v_lshl_or_b32 v5, v5, 9, 0x7c00
	s_delay_alu instid0(VALU_DEP_3)
	v_lshl_or_b32 v9, v9, 9, 0x7c00
	s_or_b32 vcc_lo, s0, vcc_lo
	s_wait_alu 0xfffe
	v_add_co_ci_u32_e32 v12, vcc_lo, 0, v12, vcc_lo
	s_or_b32 vcc_lo, s2, s1
	s_wait_alu 0xfffe
	v_add_co_ci_u32_e32 v7, vcc_lo, 0, v7, vcc_lo
	v_cmp_gt_i32_e32 vcc_lo, 31, v11
	s_wait_alu 0xfffd
	v_cndmask_b32_e32 v12, 0x7c00, v12, vcc_lo
	v_cmp_gt_i32_e32 vcc_lo, 31, v13
	s_wait_alu 0xfffd
	v_cndmask_b32_e32 v7, 0x7c00, v7, vcc_lo
	v_cmp_eq_u32_e32 vcc_lo, 0x40f, v11
	s_wait_alu 0xfffd
	v_cndmask_b32_e32 v5, v12, v5, vcc_lo
	v_cmp_eq_u32_e32 vcc_lo, 0x40f, v13
	s_delay_alu instid0(VALU_DEP_2)
	v_and_or_b32 v5, 0x8000, v8, v5
	s_wait_alu 0xfffd
	v_cndmask_b32_e32 v7, v7, v9, vcc_lo
	v_add_co_u32 v3, vcc_lo, v3, s6
	s_wait_alu 0xfffd
	v_add_co_ci_u32_e32 v4, vcc_lo, s7, v4, vcc_lo
	s_delay_alu instid0(VALU_DEP_3) | instskip(SKIP_1) | instid1(VALU_DEP_1)
	v_and_or_b32 v7, 0x8000, v10, v7
	v_and_b32_e32 v5, 0xffff, v5
	v_lshl_or_b32 v5, v7, 16, v5
	v_lshrrev_b32_e32 v7, 16, v6
	global_store_b32 v[3:4], v5, off
	global_load_b32 v5, v26, s[12:13] offset:360
	s_wait_loadcnt 0x0
	v_lshrrev_b32_e32 v8, 16, v5
	s_delay_alu instid0(VALU_DEP_1) | instskip(SKIP_1) | instid1(VALU_DEP_2)
	v_mul_f16_e32 v9, v7, v8
	v_mul_f16_e32 v8, v6, v8
	v_fmac_f16_e32 v9, v6, v5
	s_delay_alu instid0(VALU_DEP_2) | instskip(NEXT) | instid1(VALU_DEP_2)
	v_fma_f16 v5, v5, v7, -v8
	v_cvt_f32_f16_e32 v6, v9
	s_delay_alu instid0(VALU_DEP_2) | instskip(NEXT) | instid1(VALU_DEP_2)
	v_cvt_f32_f16_e32 v7, v5
	v_cvt_f64_f32_e32 v[5:6], v6
	s_delay_alu instid0(VALU_DEP_2) | instskip(NEXT) | instid1(VALU_DEP_2)
	v_cvt_f64_f32_e32 v[7:8], v7
	v_mul_f64_e32 v[5:6], s[8:9], v[5:6]
	s_delay_alu instid0(VALU_DEP_2) | instskip(NEXT) | instid1(VALU_DEP_2)
	v_mul_f64_e32 v[7:8], s[8:9], v[7:8]
	v_and_or_b32 v5, 0x1ff, v6, v5
	s_delay_alu instid0(VALU_DEP_2)
	v_and_or_b32 v7, 0x1ff, v8, v7
	v_lshrrev_b32_e32 v9, 8, v6
	v_bfe_u32 v10, v6, 20, 11
	v_lshrrev_b32_e32 v11, 8, v8
	v_cmp_ne_u32_e32 vcc_lo, 0, v5
	v_bfe_u32 v12, v8, 20, 11
	v_lshrrev_b32_e32 v6, 16, v6
	v_sub_nc_u32_e32 v13, 0x3f1, v10
	v_add_nc_u32_e32 v10, 0xfffffc10, v10
	s_wait_alu 0xfffd
	v_cndmask_b32_e64 v5, 0, 1, vcc_lo
	v_cmp_ne_u32_e32 vcc_lo, 0, v7
	v_lshrrev_b32_e32 v8, 16, v8
	s_delay_alu instid0(VALU_DEP_3) | instskip(SKIP_4) | instid1(VALU_DEP_3)
	v_and_or_b32 v5, 0xffe, v9, v5
	s_wait_alu 0xfffd
	v_cndmask_b32_e64 v7, 0, 1, vcc_lo
	v_sub_nc_u32_e32 v9, 0x3f1, v12
	v_add_nc_u32_e32 v12, 0xfffffc10, v12
	v_and_or_b32 v7, 0xffe, v11, v7
	v_med3_i32 v11, v13, 0, 13
	v_or_b32_e32 v13, 0x1000, v5
	v_med3_i32 v9, v9, 0, 13
	s_delay_alu instid0(VALU_DEP_4) | instskip(NEXT) | instid1(VALU_DEP_3)
	v_or_b32_e32 v14, 0x1000, v7
	v_lshrrev_b32_e32 v15, v11, v13
	s_delay_alu instid0(VALU_DEP_2) | instskip(NEXT) | instid1(VALU_DEP_2)
	v_lshrrev_b32_e32 v16, v9, v14
	v_lshlrev_b32_e32 v11, v11, v15
	s_delay_alu instid0(VALU_DEP_2) | instskip(NEXT) | instid1(VALU_DEP_2)
	v_lshlrev_b32_e32 v9, v9, v16
	v_cmp_ne_u32_e32 vcc_lo, v11, v13
	v_lshl_or_b32 v13, v10, 12, v5
	s_wait_alu 0xfffd
	v_cndmask_b32_e64 v11, 0, 1, vcc_lo
	v_cmp_ne_u32_e32 vcc_lo, v9, v14
	v_lshl_or_b32 v14, v12, 12, v7
	s_delay_alu instid0(VALU_DEP_3) | instskip(SKIP_3) | instid1(VALU_DEP_2)
	v_or_b32_e32 v11, v15, v11
	s_wait_alu 0xfffd
	v_cndmask_b32_e64 v9, 0, 1, vcc_lo
	v_cmp_gt_i32_e32 vcc_lo, 1, v10
	v_or_b32_e32 v9, v16, v9
	s_wait_alu 0xfffd
	v_cndmask_b32_e32 v11, v13, v11, vcc_lo
	v_cmp_gt_i32_e32 vcc_lo, 1, v12
	s_delay_alu instid0(VALU_DEP_2)
	v_and_b32_e32 v13, 7, v11
	s_wait_alu 0xfffd
	v_cndmask_b32_e32 v9, v14, v9, vcc_lo
	v_cmp_ne_u32_e32 vcc_lo, 0, v5
	v_lshrrev_b32_e32 v11, 2, v11
	v_cmp_eq_u32_e64 s0, 3, v13
	s_delay_alu instid0(VALU_DEP_4)
	v_and_b32_e32 v14, 7, v9
	s_wait_alu 0xfffd
	v_cndmask_b32_e64 v5, 0, 1, vcc_lo
	v_cmp_ne_u32_e32 vcc_lo, 0, v7
	v_lshrrev_b32_e32 v9, 2, v9
	v_cmp_lt_i32_e64 s1, 5, v14
	v_cmp_eq_u32_e64 s2, 3, v14
	s_wait_alu 0xfffd
	v_cndmask_b32_e64 v7, 0, 1, vcc_lo
	v_cmp_lt_i32_e32 vcc_lo, 5, v13
	v_lshl_or_b32 v5, v5, 9, 0x7c00
	s_delay_alu instid0(VALU_DEP_3)
	v_lshl_or_b32 v7, v7, 9, 0x7c00
	s_or_b32 vcc_lo, s0, vcc_lo
	s_wait_alu 0xfffe
	v_add_co_ci_u32_e32 v11, vcc_lo, 0, v11, vcc_lo
	s_or_b32 vcc_lo, s2, s1
	s_wait_alu 0xfffe
	v_add_co_ci_u32_e32 v9, vcc_lo, 0, v9, vcc_lo
	v_cmp_gt_i32_e32 vcc_lo, 31, v10
	s_wait_alu 0xfffd
	v_cndmask_b32_e32 v11, 0x7c00, v11, vcc_lo
	v_cmp_gt_i32_e32 vcc_lo, 31, v12
	s_wait_alu 0xfffd
	v_cndmask_b32_e32 v9, 0x7c00, v9, vcc_lo
	v_cmp_eq_u32_e32 vcc_lo, 0x40f, v10
	s_wait_alu 0xfffd
	v_cndmask_b32_e32 v5, v11, v5, vcc_lo
	v_cmp_eq_u32_e32 vcc_lo, 0x40f, v12
	s_delay_alu instid0(VALU_DEP_2)
	v_and_or_b32 v5, 0x8000, v6, v5
	s_wait_alu 0xfffd
	v_cndmask_b32_e32 v7, v9, v7, vcc_lo
	v_add_co_u32 v3, vcc_lo, v3, s6
	s_wait_alu 0xfffd
	v_add_co_ci_u32_e32 v4, vcc_lo, s7, v4, vcc_lo
	s_delay_alu instid0(VALU_DEP_3) | instskip(SKIP_1) | instid1(VALU_DEP_1)
	v_and_or_b32 v6, 0x8000, v8, v7
	v_and_b32_e32 v5, 0xffff, v5
	v_lshl_or_b32 v5, v6, 16, v5
	global_store_b32 v[3:4], v5, off
	global_load_b32 v7, v26, s[12:13] offset:396
	ds_load_2addr_b32 v[5:6], v2 offset0:99 offset1:108
	s_wait_dscnt 0x0
	v_lshrrev_b32_e32 v8, 16, v5
	s_wait_loadcnt 0x0
	v_lshrrev_b32_e32 v9, 16, v7
	s_delay_alu instid0(VALU_DEP_1) | instskip(SKIP_1) | instid1(VALU_DEP_2)
	v_mul_f16_e32 v10, v8, v9
	v_mul_f16_e32 v9, v5, v9
	v_fmac_f16_e32 v10, v5, v7
	s_delay_alu instid0(VALU_DEP_2) | instskip(NEXT) | instid1(VALU_DEP_2)
	v_fma_f16 v5, v7, v8, -v9
	v_cvt_f32_f16_e32 v7, v10
	s_delay_alu instid0(VALU_DEP_2) | instskip(NEXT) | instid1(VALU_DEP_2)
	v_cvt_f32_f16_e32 v5, v5
	v_cvt_f64_f32_e32 v[7:8], v7
	s_delay_alu instid0(VALU_DEP_2) | instskip(NEXT) | instid1(VALU_DEP_2)
	v_cvt_f64_f32_e32 v[9:10], v5
	v_mul_f64_e32 v[7:8], s[8:9], v[7:8]
	s_delay_alu instid0(VALU_DEP_2) | instskip(NEXT) | instid1(VALU_DEP_2)
	v_mul_f64_e32 v[9:10], s[8:9], v[9:10]
	v_and_or_b32 v5, 0x1ff, v8, v7
	s_delay_alu instid0(VALU_DEP_2)
	v_and_or_b32 v9, 0x1ff, v10, v9
	v_lshrrev_b32_e32 v7, 8, v8
	v_bfe_u32 v11, v8, 20, 11
	v_lshrrev_b32_e32 v12, 8, v10
	v_cmp_ne_u32_e32 vcc_lo, 0, v5
	v_bfe_u32 v13, v10, 20, 11
	v_lshrrev_b32_e32 v8, 16, v8
	v_sub_nc_u32_e32 v14, 0x3f1, v11
	v_add_nc_u32_e32 v11, 0xfffffc10, v11
	s_wait_alu 0xfffd
	v_cndmask_b32_e64 v5, 0, 1, vcc_lo
	v_cmp_ne_u32_e32 vcc_lo, 0, v9
	v_lshrrev_b32_e32 v10, 16, v10
	s_delay_alu instid0(VALU_DEP_3) | instskip(SKIP_4) | instid1(VALU_DEP_3)
	v_and_or_b32 v5, 0xffe, v7, v5
	s_wait_alu 0xfffd
	v_cndmask_b32_e64 v9, 0, 1, vcc_lo
	v_sub_nc_u32_e32 v7, 0x3f1, v13
	v_add_nc_u32_e32 v13, 0xfffffc10, v13
	v_and_or_b32 v9, 0xffe, v12, v9
	v_med3_i32 v12, v14, 0, 13
	v_or_b32_e32 v14, 0x1000, v5
	v_med3_i32 v7, v7, 0, 13
	s_delay_alu instid0(VALU_DEP_4) | instskip(NEXT) | instid1(VALU_DEP_3)
	v_or_b32_e32 v15, 0x1000, v9
	v_lshrrev_b32_e32 v16, v12, v14
	s_delay_alu instid0(VALU_DEP_2) | instskip(NEXT) | instid1(VALU_DEP_2)
	v_lshrrev_b32_e32 v17, v7, v15
	v_lshlrev_b32_e32 v12, v12, v16
	s_delay_alu instid0(VALU_DEP_2) | instskip(NEXT) | instid1(VALU_DEP_2)
	v_lshlrev_b32_e32 v7, v7, v17
	v_cmp_ne_u32_e32 vcc_lo, v12, v14
	v_lshl_or_b32 v14, v11, 12, v5
	s_wait_alu 0xfffd
	v_cndmask_b32_e64 v12, 0, 1, vcc_lo
	v_cmp_ne_u32_e32 vcc_lo, v7, v15
	v_lshl_or_b32 v15, v13, 12, v9
	s_delay_alu instid0(VALU_DEP_3) | instskip(SKIP_3) | instid1(VALU_DEP_2)
	v_or_b32_e32 v12, v16, v12
	s_wait_alu 0xfffd
	v_cndmask_b32_e64 v7, 0, 1, vcc_lo
	v_cmp_gt_i32_e32 vcc_lo, 1, v11
	v_or_b32_e32 v7, v17, v7
	s_wait_alu 0xfffd
	v_cndmask_b32_e32 v12, v14, v12, vcc_lo
	v_cmp_gt_i32_e32 vcc_lo, 1, v13
	s_wait_alu 0xfffd
	s_delay_alu instid0(VALU_DEP_2) | instskip(SKIP_2) | instid1(VALU_DEP_3)
	v_dual_cndmask_b32 v7, v15, v7 :: v_dual_and_b32 v14, 7, v12
	v_cmp_ne_u32_e32 vcc_lo, 0, v5
	v_lshrrev_b32_e32 v12, 2, v12
	v_cmp_eq_u32_e64 s0, 3, v14
	s_delay_alu instid0(VALU_DEP_4)
	v_and_b32_e32 v15, 7, v7
	s_wait_alu 0xfffd
	v_cndmask_b32_e64 v5, 0, 1, vcc_lo
	v_cmp_ne_u32_e32 vcc_lo, 0, v9
	v_lshrrev_b32_e32 v7, 2, v7
	v_cmp_lt_i32_e64 s1, 5, v15
	v_cmp_eq_u32_e64 s2, 3, v15
	s_wait_alu 0xfffd
	v_cndmask_b32_e64 v9, 0, 1, vcc_lo
	v_cmp_lt_i32_e32 vcc_lo, 5, v14
	v_lshl_or_b32 v5, v5, 9, 0x7c00
	s_delay_alu instid0(VALU_DEP_3)
	v_lshl_or_b32 v9, v9, 9, 0x7c00
	s_or_b32 vcc_lo, s0, vcc_lo
	s_wait_alu 0xfffe
	v_add_co_ci_u32_e32 v12, vcc_lo, 0, v12, vcc_lo
	s_or_b32 vcc_lo, s2, s1
	s_wait_alu 0xfffe
	v_add_co_ci_u32_e32 v7, vcc_lo, 0, v7, vcc_lo
	v_cmp_gt_i32_e32 vcc_lo, 31, v11
	s_wait_alu 0xfffd
	v_cndmask_b32_e32 v12, 0x7c00, v12, vcc_lo
	v_cmp_gt_i32_e32 vcc_lo, 31, v13
	s_wait_alu 0xfffd
	v_cndmask_b32_e32 v7, 0x7c00, v7, vcc_lo
	v_cmp_eq_u32_e32 vcc_lo, 0x40f, v11
	s_wait_alu 0xfffd
	v_cndmask_b32_e32 v5, v12, v5, vcc_lo
	v_cmp_eq_u32_e32 vcc_lo, 0x40f, v13
	s_delay_alu instid0(VALU_DEP_2)
	v_and_or_b32 v5, 0x8000, v8, v5
	s_wait_alu 0xfffd
	v_cndmask_b32_e32 v7, v7, v9, vcc_lo
	v_add_co_u32 v3, vcc_lo, v3, s6
	s_wait_alu 0xfffd
	v_add_co_ci_u32_e32 v4, vcc_lo, s7, v4, vcc_lo
	s_delay_alu instid0(VALU_DEP_3) | instskip(SKIP_1) | instid1(VALU_DEP_1)
	v_and_or_b32 v7, 0x8000, v10, v7
	v_and_b32_e32 v5, 0xffff, v5
	v_lshl_or_b32 v5, v7, 16, v5
	v_lshrrev_b32_e32 v7, 16, v6
	global_store_b32 v[3:4], v5, off
	global_load_b32 v5, v26, s[12:13] offset:432
	s_wait_loadcnt 0x0
	v_lshrrev_b32_e32 v8, 16, v5
	s_delay_alu instid0(VALU_DEP_1) | instskip(SKIP_1) | instid1(VALU_DEP_2)
	v_mul_f16_e32 v9, v7, v8
	v_mul_f16_e32 v8, v6, v8
	v_fmac_f16_e32 v9, v6, v5
	s_delay_alu instid0(VALU_DEP_2) | instskip(NEXT) | instid1(VALU_DEP_2)
	v_fma_f16 v5, v5, v7, -v8
	v_cvt_f32_f16_e32 v6, v9
	s_delay_alu instid0(VALU_DEP_2) | instskip(NEXT) | instid1(VALU_DEP_2)
	v_cvt_f32_f16_e32 v7, v5
	v_cvt_f64_f32_e32 v[5:6], v6
	s_delay_alu instid0(VALU_DEP_2) | instskip(NEXT) | instid1(VALU_DEP_2)
	v_cvt_f64_f32_e32 v[7:8], v7
	v_mul_f64_e32 v[5:6], s[8:9], v[5:6]
	s_delay_alu instid0(VALU_DEP_2) | instskip(NEXT) | instid1(VALU_DEP_2)
	v_mul_f64_e32 v[7:8], s[8:9], v[7:8]
	v_and_or_b32 v5, 0x1ff, v6, v5
	s_delay_alu instid0(VALU_DEP_2)
	v_and_or_b32 v7, 0x1ff, v8, v7
	v_lshrrev_b32_e32 v9, 8, v6
	v_bfe_u32 v10, v6, 20, 11
	v_lshrrev_b32_e32 v11, 8, v8
	v_cmp_ne_u32_e32 vcc_lo, 0, v5
	v_bfe_u32 v12, v8, 20, 11
	v_lshrrev_b32_e32 v6, 16, v6
	v_sub_nc_u32_e32 v13, 0x3f1, v10
	v_add_nc_u32_e32 v10, 0xfffffc10, v10
	s_wait_alu 0xfffd
	v_cndmask_b32_e64 v5, 0, 1, vcc_lo
	v_cmp_ne_u32_e32 vcc_lo, 0, v7
	v_lshrrev_b32_e32 v8, 16, v8
	s_delay_alu instid0(VALU_DEP_3) | instskip(SKIP_4) | instid1(VALU_DEP_3)
	v_and_or_b32 v5, 0xffe, v9, v5
	s_wait_alu 0xfffd
	v_cndmask_b32_e64 v7, 0, 1, vcc_lo
	v_sub_nc_u32_e32 v9, 0x3f1, v12
	v_add_nc_u32_e32 v12, 0xfffffc10, v12
	v_and_or_b32 v7, 0xffe, v11, v7
	v_med3_i32 v11, v13, 0, 13
	v_or_b32_e32 v13, 0x1000, v5
	v_med3_i32 v9, v9, 0, 13
	s_delay_alu instid0(VALU_DEP_4) | instskip(NEXT) | instid1(VALU_DEP_3)
	v_or_b32_e32 v14, 0x1000, v7
	v_lshrrev_b32_e32 v15, v11, v13
	s_delay_alu instid0(VALU_DEP_2) | instskip(NEXT) | instid1(VALU_DEP_2)
	v_lshrrev_b32_e32 v16, v9, v14
	v_lshlrev_b32_e32 v11, v11, v15
	s_delay_alu instid0(VALU_DEP_2) | instskip(NEXT) | instid1(VALU_DEP_2)
	v_lshlrev_b32_e32 v9, v9, v16
	v_cmp_ne_u32_e32 vcc_lo, v11, v13
	v_lshl_or_b32 v13, v10, 12, v5
	s_wait_alu 0xfffd
	v_cndmask_b32_e64 v11, 0, 1, vcc_lo
	v_cmp_ne_u32_e32 vcc_lo, v9, v14
	v_lshl_or_b32 v14, v12, 12, v7
	s_delay_alu instid0(VALU_DEP_3) | instskip(SKIP_3) | instid1(VALU_DEP_2)
	v_or_b32_e32 v11, v15, v11
	s_wait_alu 0xfffd
	v_cndmask_b32_e64 v9, 0, 1, vcc_lo
	v_cmp_gt_i32_e32 vcc_lo, 1, v10
	v_or_b32_e32 v9, v16, v9
	s_wait_alu 0xfffd
	v_cndmask_b32_e32 v11, v13, v11, vcc_lo
	v_cmp_gt_i32_e32 vcc_lo, 1, v12
	s_delay_alu instid0(VALU_DEP_2)
	v_and_b32_e32 v13, 7, v11
	s_wait_alu 0xfffd
	v_cndmask_b32_e32 v9, v14, v9, vcc_lo
	v_cmp_ne_u32_e32 vcc_lo, 0, v5
	v_lshrrev_b32_e32 v11, 2, v11
	v_cmp_eq_u32_e64 s0, 3, v13
	s_delay_alu instid0(VALU_DEP_4)
	v_and_b32_e32 v14, 7, v9
	s_wait_alu 0xfffd
	v_cndmask_b32_e64 v5, 0, 1, vcc_lo
	v_cmp_ne_u32_e32 vcc_lo, 0, v7
	v_lshrrev_b32_e32 v9, 2, v9
	v_cmp_lt_i32_e64 s1, 5, v14
	v_cmp_eq_u32_e64 s2, 3, v14
	s_wait_alu 0xfffd
	v_cndmask_b32_e64 v7, 0, 1, vcc_lo
	v_cmp_lt_i32_e32 vcc_lo, 5, v13
	v_lshl_or_b32 v5, v5, 9, 0x7c00
	s_delay_alu instid0(VALU_DEP_3)
	v_lshl_or_b32 v7, v7, 9, 0x7c00
	s_or_b32 vcc_lo, s0, vcc_lo
	s_wait_alu 0xfffe
	v_add_co_ci_u32_e32 v11, vcc_lo, 0, v11, vcc_lo
	s_or_b32 vcc_lo, s2, s1
	s_wait_alu 0xfffe
	v_add_co_ci_u32_e32 v9, vcc_lo, 0, v9, vcc_lo
	v_cmp_gt_i32_e32 vcc_lo, 31, v10
	s_wait_alu 0xfffd
	v_cndmask_b32_e32 v11, 0x7c00, v11, vcc_lo
	v_cmp_gt_i32_e32 vcc_lo, 31, v12
	s_wait_alu 0xfffd
	v_cndmask_b32_e32 v9, 0x7c00, v9, vcc_lo
	v_cmp_eq_u32_e32 vcc_lo, 0x40f, v10
	s_wait_alu 0xfffd
	v_cndmask_b32_e32 v5, v11, v5, vcc_lo
	v_cmp_eq_u32_e32 vcc_lo, 0x40f, v12
	s_delay_alu instid0(VALU_DEP_2)
	v_and_or_b32 v5, 0x8000, v6, v5
	s_wait_alu 0xfffd
	v_cndmask_b32_e32 v7, v9, v7, vcc_lo
	v_add_co_u32 v3, vcc_lo, v3, s6
	s_wait_alu 0xfffd
	v_add_co_ci_u32_e32 v4, vcc_lo, s7, v4, vcc_lo
	s_delay_alu instid0(VALU_DEP_3) | instskip(SKIP_1) | instid1(VALU_DEP_1)
	v_and_or_b32 v6, 0x8000, v8, v7
	v_and_b32_e32 v5, 0xffff, v5
	v_lshl_or_b32 v5, v6, 16, v5
	global_store_b32 v[3:4], v5, off
	global_load_b32 v7, v26, s[12:13] offset:468
	ds_load_2addr_b32 v[5:6], v2 offset0:117 offset1:126
	s_wait_dscnt 0x0
	v_lshrrev_b32_e32 v8, 16, v5
	s_wait_loadcnt 0x0
	v_lshrrev_b32_e32 v9, 16, v7
	s_delay_alu instid0(VALU_DEP_1) | instskip(SKIP_1) | instid1(VALU_DEP_2)
	v_mul_f16_e32 v10, v8, v9
	v_mul_f16_e32 v9, v5, v9
	v_fmac_f16_e32 v10, v5, v7
	s_delay_alu instid0(VALU_DEP_2) | instskip(NEXT) | instid1(VALU_DEP_2)
	v_fma_f16 v5, v7, v8, -v9
	v_cvt_f32_f16_e32 v7, v10
	s_delay_alu instid0(VALU_DEP_2) | instskip(NEXT) | instid1(VALU_DEP_2)
	v_cvt_f32_f16_e32 v5, v5
	v_cvt_f64_f32_e32 v[7:8], v7
	s_delay_alu instid0(VALU_DEP_2) | instskip(NEXT) | instid1(VALU_DEP_2)
	v_cvt_f64_f32_e32 v[9:10], v5
	v_mul_f64_e32 v[7:8], s[8:9], v[7:8]
	s_delay_alu instid0(VALU_DEP_2) | instskip(NEXT) | instid1(VALU_DEP_2)
	v_mul_f64_e32 v[9:10], s[8:9], v[9:10]
	v_and_or_b32 v5, 0x1ff, v8, v7
	s_delay_alu instid0(VALU_DEP_2)
	v_and_or_b32 v9, 0x1ff, v10, v9
	v_lshrrev_b32_e32 v7, 8, v8
	v_bfe_u32 v11, v8, 20, 11
	v_lshrrev_b32_e32 v12, 8, v10
	v_cmp_ne_u32_e32 vcc_lo, 0, v5
	v_bfe_u32 v13, v10, 20, 11
	v_lshrrev_b32_e32 v8, 16, v8
	v_sub_nc_u32_e32 v14, 0x3f1, v11
	v_add_nc_u32_e32 v11, 0xfffffc10, v11
	s_wait_alu 0xfffd
	v_cndmask_b32_e64 v5, 0, 1, vcc_lo
	v_cmp_ne_u32_e32 vcc_lo, 0, v9
	v_lshrrev_b32_e32 v10, 16, v10
	s_delay_alu instid0(VALU_DEP_3) | instskip(SKIP_4) | instid1(VALU_DEP_3)
	v_and_or_b32 v5, 0xffe, v7, v5
	s_wait_alu 0xfffd
	v_cndmask_b32_e64 v9, 0, 1, vcc_lo
	v_sub_nc_u32_e32 v7, 0x3f1, v13
	v_add_nc_u32_e32 v13, 0xfffffc10, v13
	v_and_or_b32 v9, 0xffe, v12, v9
	v_med3_i32 v12, v14, 0, 13
	v_or_b32_e32 v14, 0x1000, v5
	v_med3_i32 v7, v7, 0, 13
	s_delay_alu instid0(VALU_DEP_4) | instskip(NEXT) | instid1(VALU_DEP_3)
	v_or_b32_e32 v15, 0x1000, v9
	v_lshrrev_b32_e32 v16, v12, v14
	s_delay_alu instid0(VALU_DEP_2) | instskip(NEXT) | instid1(VALU_DEP_2)
	v_lshrrev_b32_e32 v17, v7, v15
	v_lshlrev_b32_e32 v12, v12, v16
	s_delay_alu instid0(VALU_DEP_2) | instskip(NEXT) | instid1(VALU_DEP_2)
	v_lshlrev_b32_e32 v7, v7, v17
	v_cmp_ne_u32_e32 vcc_lo, v12, v14
	v_lshl_or_b32 v14, v11, 12, v5
	s_wait_alu 0xfffd
	v_cndmask_b32_e64 v12, 0, 1, vcc_lo
	v_cmp_ne_u32_e32 vcc_lo, v7, v15
	v_lshl_or_b32 v15, v13, 12, v9
	s_delay_alu instid0(VALU_DEP_3) | instskip(SKIP_3) | instid1(VALU_DEP_2)
	v_or_b32_e32 v12, v16, v12
	s_wait_alu 0xfffd
	v_cndmask_b32_e64 v7, 0, 1, vcc_lo
	v_cmp_gt_i32_e32 vcc_lo, 1, v11
	v_or_b32_e32 v7, v17, v7
	s_wait_alu 0xfffd
	v_cndmask_b32_e32 v12, v14, v12, vcc_lo
	v_cmp_gt_i32_e32 vcc_lo, 1, v13
	s_wait_alu 0xfffd
	s_delay_alu instid0(VALU_DEP_2) | instskip(SKIP_2) | instid1(VALU_DEP_3)
	v_dual_cndmask_b32 v7, v15, v7 :: v_dual_and_b32 v14, 7, v12
	v_cmp_ne_u32_e32 vcc_lo, 0, v5
	v_lshrrev_b32_e32 v12, 2, v12
	v_cmp_eq_u32_e64 s0, 3, v14
	s_delay_alu instid0(VALU_DEP_4)
	v_and_b32_e32 v15, 7, v7
	s_wait_alu 0xfffd
	v_cndmask_b32_e64 v5, 0, 1, vcc_lo
	v_cmp_ne_u32_e32 vcc_lo, 0, v9
	v_lshrrev_b32_e32 v7, 2, v7
	v_cmp_lt_i32_e64 s1, 5, v15
	v_cmp_eq_u32_e64 s2, 3, v15
	s_wait_alu 0xfffd
	v_cndmask_b32_e64 v9, 0, 1, vcc_lo
	v_cmp_lt_i32_e32 vcc_lo, 5, v14
	v_lshl_or_b32 v5, v5, 9, 0x7c00
	s_delay_alu instid0(VALU_DEP_3)
	v_lshl_or_b32 v9, v9, 9, 0x7c00
	s_or_b32 vcc_lo, s0, vcc_lo
	s_wait_alu 0xfffe
	v_add_co_ci_u32_e32 v12, vcc_lo, 0, v12, vcc_lo
	s_or_b32 vcc_lo, s2, s1
	s_wait_alu 0xfffe
	v_add_co_ci_u32_e32 v7, vcc_lo, 0, v7, vcc_lo
	v_cmp_gt_i32_e32 vcc_lo, 31, v11
	s_wait_alu 0xfffd
	v_cndmask_b32_e32 v12, 0x7c00, v12, vcc_lo
	v_cmp_gt_i32_e32 vcc_lo, 31, v13
	s_wait_alu 0xfffd
	v_cndmask_b32_e32 v7, 0x7c00, v7, vcc_lo
	v_cmp_eq_u32_e32 vcc_lo, 0x40f, v11
	s_wait_alu 0xfffd
	v_cndmask_b32_e32 v5, v12, v5, vcc_lo
	v_cmp_eq_u32_e32 vcc_lo, 0x40f, v13
	s_delay_alu instid0(VALU_DEP_2)
	v_and_or_b32 v5, 0x8000, v8, v5
	s_wait_alu 0xfffd
	v_cndmask_b32_e32 v7, v7, v9, vcc_lo
	v_add_co_u32 v3, vcc_lo, v3, s6
	s_wait_alu 0xfffd
	v_add_co_ci_u32_e32 v4, vcc_lo, s7, v4, vcc_lo
	s_delay_alu instid0(VALU_DEP_3) | instskip(SKIP_1) | instid1(VALU_DEP_1)
	v_and_or_b32 v7, 0x8000, v10, v7
	v_and_b32_e32 v5, 0xffff, v5
	v_lshl_or_b32 v5, v7, 16, v5
	v_lshrrev_b32_e32 v7, 16, v6
	global_store_b32 v[3:4], v5, off
	global_load_b32 v5, v26, s[12:13] offset:504
	s_wait_loadcnt 0x0
	v_lshrrev_b32_e32 v8, 16, v5
	s_delay_alu instid0(VALU_DEP_1) | instskip(SKIP_1) | instid1(VALU_DEP_2)
	v_mul_f16_e32 v9, v7, v8
	v_mul_f16_e32 v8, v6, v8
	v_fmac_f16_e32 v9, v6, v5
	s_delay_alu instid0(VALU_DEP_2) | instskip(NEXT) | instid1(VALU_DEP_2)
	v_fma_f16 v5, v5, v7, -v8
	v_cvt_f32_f16_e32 v6, v9
	s_delay_alu instid0(VALU_DEP_2) | instskip(NEXT) | instid1(VALU_DEP_2)
	v_cvt_f32_f16_e32 v7, v5
	v_cvt_f64_f32_e32 v[5:6], v6
	s_delay_alu instid0(VALU_DEP_2) | instskip(NEXT) | instid1(VALU_DEP_2)
	v_cvt_f64_f32_e32 v[7:8], v7
	v_mul_f64_e32 v[5:6], s[8:9], v[5:6]
	s_delay_alu instid0(VALU_DEP_2) | instskip(NEXT) | instid1(VALU_DEP_2)
	v_mul_f64_e32 v[7:8], s[8:9], v[7:8]
	v_and_or_b32 v5, 0x1ff, v6, v5
	s_delay_alu instid0(VALU_DEP_2)
	v_and_or_b32 v7, 0x1ff, v8, v7
	v_lshrrev_b32_e32 v9, 8, v6
	v_bfe_u32 v10, v6, 20, 11
	v_lshrrev_b32_e32 v11, 8, v8
	v_cmp_ne_u32_e32 vcc_lo, 0, v5
	v_bfe_u32 v12, v8, 20, 11
	v_lshrrev_b32_e32 v6, 16, v6
	v_sub_nc_u32_e32 v13, 0x3f1, v10
	v_add_nc_u32_e32 v10, 0xfffffc10, v10
	s_wait_alu 0xfffd
	v_cndmask_b32_e64 v5, 0, 1, vcc_lo
	v_cmp_ne_u32_e32 vcc_lo, 0, v7
	v_lshrrev_b32_e32 v8, 16, v8
	s_delay_alu instid0(VALU_DEP_3) | instskip(SKIP_4) | instid1(VALU_DEP_3)
	v_and_or_b32 v5, 0xffe, v9, v5
	s_wait_alu 0xfffd
	v_cndmask_b32_e64 v7, 0, 1, vcc_lo
	v_sub_nc_u32_e32 v9, 0x3f1, v12
	v_add_nc_u32_e32 v12, 0xfffffc10, v12
	v_and_or_b32 v7, 0xffe, v11, v7
	v_med3_i32 v11, v13, 0, 13
	v_or_b32_e32 v13, 0x1000, v5
	v_med3_i32 v9, v9, 0, 13
	s_delay_alu instid0(VALU_DEP_4) | instskip(NEXT) | instid1(VALU_DEP_3)
	v_or_b32_e32 v14, 0x1000, v7
	v_lshrrev_b32_e32 v15, v11, v13
	s_delay_alu instid0(VALU_DEP_2) | instskip(NEXT) | instid1(VALU_DEP_2)
	v_lshrrev_b32_e32 v16, v9, v14
	v_lshlrev_b32_e32 v11, v11, v15
	s_delay_alu instid0(VALU_DEP_2) | instskip(NEXT) | instid1(VALU_DEP_2)
	v_lshlrev_b32_e32 v9, v9, v16
	v_cmp_ne_u32_e32 vcc_lo, v11, v13
	v_lshl_or_b32 v13, v10, 12, v5
	s_wait_alu 0xfffd
	v_cndmask_b32_e64 v11, 0, 1, vcc_lo
	v_cmp_ne_u32_e32 vcc_lo, v9, v14
	v_lshl_or_b32 v14, v12, 12, v7
	s_delay_alu instid0(VALU_DEP_3) | instskip(SKIP_3) | instid1(VALU_DEP_2)
	v_or_b32_e32 v11, v15, v11
	s_wait_alu 0xfffd
	v_cndmask_b32_e64 v9, 0, 1, vcc_lo
	v_cmp_gt_i32_e32 vcc_lo, 1, v10
	v_or_b32_e32 v9, v16, v9
	s_wait_alu 0xfffd
	v_cndmask_b32_e32 v11, v13, v11, vcc_lo
	v_cmp_gt_i32_e32 vcc_lo, 1, v12
	s_delay_alu instid0(VALU_DEP_2)
	v_and_b32_e32 v13, 7, v11
	s_wait_alu 0xfffd
	v_cndmask_b32_e32 v9, v14, v9, vcc_lo
	v_cmp_ne_u32_e32 vcc_lo, 0, v5
	v_lshrrev_b32_e32 v11, 2, v11
	v_cmp_eq_u32_e64 s0, 3, v13
	s_delay_alu instid0(VALU_DEP_4)
	v_and_b32_e32 v14, 7, v9
	s_wait_alu 0xfffd
	v_cndmask_b32_e64 v5, 0, 1, vcc_lo
	v_cmp_ne_u32_e32 vcc_lo, 0, v7
	v_lshrrev_b32_e32 v9, 2, v9
	v_cmp_lt_i32_e64 s1, 5, v14
	v_cmp_eq_u32_e64 s2, 3, v14
	s_wait_alu 0xfffd
	v_cndmask_b32_e64 v7, 0, 1, vcc_lo
	v_cmp_lt_i32_e32 vcc_lo, 5, v13
	v_lshl_or_b32 v5, v5, 9, 0x7c00
	s_delay_alu instid0(VALU_DEP_3)
	v_lshl_or_b32 v7, v7, 9, 0x7c00
	s_or_b32 vcc_lo, s0, vcc_lo
	s_wait_alu 0xfffe
	v_add_co_ci_u32_e32 v11, vcc_lo, 0, v11, vcc_lo
	s_or_b32 vcc_lo, s2, s1
	s_wait_alu 0xfffe
	v_add_co_ci_u32_e32 v9, vcc_lo, 0, v9, vcc_lo
	v_cmp_gt_i32_e32 vcc_lo, 31, v10
	s_wait_alu 0xfffd
	v_cndmask_b32_e32 v11, 0x7c00, v11, vcc_lo
	v_cmp_gt_i32_e32 vcc_lo, 31, v12
	s_wait_alu 0xfffd
	v_cndmask_b32_e32 v9, 0x7c00, v9, vcc_lo
	v_cmp_eq_u32_e32 vcc_lo, 0x40f, v10
	s_wait_alu 0xfffd
	v_cndmask_b32_e32 v5, v11, v5, vcc_lo
	v_cmp_eq_u32_e32 vcc_lo, 0x40f, v12
	s_delay_alu instid0(VALU_DEP_2)
	v_and_or_b32 v5, 0x8000, v6, v5
	s_wait_alu 0xfffd
	v_cndmask_b32_e32 v7, v9, v7, vcc_lo
	v_add_co_u32 v3, vcc_lo, v3, s6
	s_wait_alu 0xfffd
	v_add_co_ci_u32_e32 v4, vcc_lo, s7, v4, vcc_lo
	s_delay_alu instid0(VALU_DEP_3) | instskip(SKIP_1) | instid1(VALU_DEP_1)
	v_and_or_b32 v6, 0x8000, v8, v7
	v_and_b32_e32 v5, 0xffff, v5
	v_lshl_or_b32 v5, v6, 16, v5
	global_store_b32 v[3:4], v5, off
	global_load_b32 v7, v26, s[12:13] offset:540
	ds_load_2addr_b32 v[5:6], v2 offset0:135 offset1:144
	s_wait_dscnt 0x0
	v_lshrrev_b32_e32 v2, 16, v5
	s_wait_loadcnt 0x0
	v_lshrrev_b32_e32 v8, 16, v7
	s_delay_alu instid0(VALU_DEP_1) | instskip(SKIP_1) | instid1(VALU_DEP_2)
	v_mul_f16_e32 v9, v2, v8
	v_mul_f16_e32 v8, v5, v8
	v_fmac_f16_e32 v9, v5, v7
	s_delay_alu instid0(VALU_DEP_2) | instskip(NEXT) | instid1(VALU_DEP_2)
	v_fma_f16 v2, v7, v2, -v8
	v_cvt_f32_f16_e32 v5, v9
	s_delay_alu instid0(VALU_DEP_2) | instskip(NEXT) | instid1(VALU_DEP_2)
	v_cvt_f32_f16_e32 v2, v2
	v_cvt_f64_f32_e32 v[7:8], v5
	s_delay_alu instid0(VALU_DEP_2) | instskip(NEXT) | instid1(VALU_DEP_2)
	v_cvt_f64_f32_e32 v[9:10], v2
	v_mul_f64_e32 v[7:8], s[8:9], v[7:8]
	s_delay_alu instid0(VALU_DEP_2) | instskip(NEXT) | instid1(VALU_DEP_2)
	v_mul_f64_e32 v[9:10], s[8:9], v[9:10]
	v_and_or_b32 v2, 0x1ff, v8, v7
	s_delay_alu instid0(VALU_DEP_2)
	v_and_or_b32 v9, 0x1ff, v10, v9
	v_lshrrev_b32_e32 v5, 8, v8
	v_bfe_u32 v7, v8, 20, 11
	v_lshrrev_b32_e32 v11, 8, v10
	v_cmp_ne_u32_e32 vcc_lo, 0, v2
	v_bfe_u32 v12, v10, 20, 11
	v_lshrrev_b32_e32 v8, 16, v8
	v_sub_nc_u32_e32 v13, 0x3f1, v7
	v_add_nc_u32_e32 v7, 0xfffffc10, v7
	s_wait_alu 0xfffd
	v_cndmask_b32_e64 v2, 0, 1, vcc_lo
	v_cmp_ne_u32_e32 vcc_lo, 0, v9
	s_delay_alu instid0(VALU_DEP_2) | instskip(SKIP_4) | instid1(VALU_DEP_3)
	v_and_or_b32 v2, 0xffe, v5, v2
	s_wait_alu 0xfffd
	v_cndmask_b32_e64 v9, 0, 1, vcc_lo
	v_sub_nc_u32_e32 v5, 0x3f1, v12
	v_add_nc_u32_e32 v12, 0xfffffc10, v12
	v_and_or_b32 v9, 0xffe, v11, v9
	v_med3_i32 v11, v13, 0, 13
	v_or_b32_e32 v13, 0x1000, v2
	v_med3_i32 v5, v5, 0, 13
	s_delay_alu instid0(VALU_DEP_4) | instskip(NEXT) | instid1(VALU_DEP_3)
	v_or_b32_e32 v14, 0x1000, v9
	v_lshrrev_b32_e32 v15, v11, v13
	s_delay_alu instid0(VALU_DEP_2) | instskip(NEXT) | instid1(VALU_DEP_2)
	v_lshrrev_b32_e32 v16, v5, v14
	v_lshlrev_b32_e32 v11, v11, v15
	s_delay_alu instid0(VALU_DEP_2) | instskip(NEXT) | instid1(VALU_DEP_2)
	v_lshlrev_b32_e32 v5, v5, v16
	v_cmp_ne_u32_e32 vcc_lo, v11, v13
	v_lshl_or_b32 v13, v7, 12, v2
	s_wait_alu 0xfffd
	v_cndmask_b32_e64 v11, 0, 1, vcc_lo
	v_cmp_ne_u32_e32 vcc_lo, v5, v14
	v_lshl_or_b32 v14, v12, 12, v9
	s_delay_alu instid0(VALU_DEP_3) | instskip(SKIP_3) | instid1(VALU_DEP_2)
	v_or_b32_e32 v11, v15, v11
	s_wait_alu 0xfffd
	v_cndmask_b32_e64 v5, 0, 1, vcc_lo
	v_cmp_gt_i32_e32 vcc_lo, 1, v7
	v_or_b32_e32 v5, v16, v5
	s_wait_alu 0xfffd
	v_cndmask_b32_e32 v11, v13, v11, vcc_lo
	v_cmp_gt_i32_e32 vcc_lo, 1, v12
	s_delay_alu instid0(VALU_DEP_2)
	v_and_b32_e32 v13, 7, v11
	s_wait_alu 0xfffd
	v_cndmask_b32_e32 v5, v14, v5, vcc_lo
	v_cmp_ne_u32_e32 vcc_lo, 0, v2
	v_lshrrev_b32_e32 v11, 2, v11
	v_cmp_eq_u32_e64 s0, 3, v13
	s_delay_alu instid0(VALU_DEP_4)
	v_and_b32_e32 v14, 7, v5
	s_wait_alu 0xfffd
	v_cndmask_b32_e64 v2, 0, 1, vcc_lo
	v_cmp_ne_u32_e32 vcc_lo, 0, v9
	v_lshrrev_b32_e32 v5, 2, v5
	v_cmp_lt_i32_e64 s1, 5, v14
	v_cmp_eq_u32_e64 s2, 3, v14
	s_wait_alu 0xfffd
	v_cndmask_b32_e64 v9, 0, 1, vcc_lo
	v_cmp_lt_i32_e32 vcc_lo, 5, v13
	v_lshl_or_b32 v2, v2, 9, 0x7c00
	s_delay_alu instid0(VALU_DEP_3)
	v_lshl_or_b32 v9, v9, 9, 0x7c00
	s_or_b32 vcc_lo, s0, vcc_lo
	s_wait_alu 0xfffe
	v_add_co_ci_u32_e32 v11, vcc_lo, 0, v11, vcc_lo
	s_or_b32 vcc_lo, s2, s1
	s_wait_alu 0xfffe
	v_add_co_ci_u32_e32 v5, vcc_lo, 0, v5, vcc_lo
	v_cmp_gt_i32_e32 vcc_lo, 31, v7
	s_wait_alu 0xfffd
	v_cndmask_b32_e32 v11, 0x7c00, v11, vcc_lo
	v_cmp_gt_i32_e32 vcc_lo, 31, v12
	s_wait_alu 0xfffd
	v_cndmask_b32_e32 v5, 0x7c00, v5, vcc_lo
	v_cmp_eq_u32_e32 vcc_lo, 0x40f, v7
	v_lshrrev_b32_e32 v7, 16, v10
	s_wait_alu 0xfffd
	v_cndmask_b32_e32 v2, v11, v2, vcc_lo
	v_cmp_eq_u32_e32 vcc_lo, 0x40f, v12
	s_delay_alu instid0(VALU_DEP_2) | instskip(SKIP_2) | instid1(VALU_DEP_1)
	v_and_or_b32 v2, 0x8000, v8, v2
	s_wait_alu 0xfffd
	v_cndmask_b32_e32 v5, v5, v9, vcc_lo
	v_and_or_b32 v5, 0x8000, v7, v5
	s_delay_alu instid0(VALU_DEP_3) | instskip(SKIP_3) | instid1(VALU_DEP_3)
	v_and_b32_e32 v7, 0xffff, v2
	v_add_co_u32 v2, vcc_lo, v3, s6
	s_wait_alu 0xfffd
	v_add_co_ci_u32_e32 v3, vcc_lo, s7, v4, vcc_lo
	v_lshl_or_b32 v4, v5, 16, v7
	global_store_b32 v[2:3], v4, off
	global_load_b32 v2, v26, s[12:13] offset:576
	v_lshrrev_b32_e32 v3, 16, v6
	s_wait_loadcnt 0x0
	v_lshrrev_b32_e32 v4, 16, v2
	s_delay_alu instid0(VALU_DEP_1) | instskip(SKIP_1) | instid1(VALU_DEP_2)
	v_mul_f16_e32 v5, v3, v4
	v_mul_f16_e32 v4, v6, v4
	v_fmac_f16_e32 v5, v6, v2
	s_delay_alu instid0(VALU_DEP_2) | instskip(NEXT) | instid1(VALU_DEP_2)
	v_fma_f16 v2, v2, v3, -v4
	v_cvt_f32_f16_e32 v3, v5
	s_delay_alu instid0(VALU_DEP_2) | instskip(NEXT) | instid1(VALU_DEP_2)
	v_cvt_f32_f16_e32 v4, v2
	v_cvt_f64_f32_e32 v[2:3], v3
	s_delay_alu instid0(VALU_DEP_2) | instskip(NEXT) | instid1(VALU_DEP_2)
	v_cvt_f64_f32_e32 v[4:5], v4
	v_mul_f64_e32 v[2:3], s[8:9], v[2:3]
	s_delay_alu instid0(VALU_DEP_2) | instskip(NEXT) | instid1(VALU_DEP_2)
	v_mul_f64_e32 v[4:5], s[8:9], v[4:5]
	v_and_or_b32 v2, 0x1ff, v3, v2
	s_delay_alu instid0(VALU_DEP_2)
	v_and_or_b32 v4, 0x1ff, v5, v4
	v_lshrrev_b32_e32 v6, 8, v3
	v_bfe_u32 v8, v3, 20, 11
	v_bfe_u32 v9, v5, 20, 11
	v_cmp_ne_u32_e32 vcc_lo, 0, v2
	v_lshrrev_b32_e32 v7, 8, v5
	v_lshrrev_b32_e32 v5, 16, v5
	v_sub_nc_u32_e32 v10, 0x3f1, v8
	v_sub_nc_u32_e32 v11, 0x3f1, v9
	s_wait_alu 0xfffd
	v_cndmask_b32_e64 v2, 0, 1, vcc_lo
	v_cmp_ne_u32_e32 vcc_lo, 0, v4
	v_add_nc_u32_e32 v9, 0xfffffc10, v9
	s_delay_alu instid0(VALU_DEP_3)
	v_and_or_b32 v12, 0xffe, v6, v2
	s_wait_alu 0xfffd
	v_cndmask_b32_e64 v4, 0, 1, vcc_lo
	v_med3_i32 v2, v10, 0, 13
	v_med3_i32 v10, v11, 0, 13
	v_or_b32_e32 v11, 0x1000, v12
	s_delay_alu instid0(VALU_DEP_4) | instskip(SKIP_1) | instid1(VALU_DEP_3)
	v_and_or_b32 v4, 0xffe, v7, v4
	v_mad_co_u64_u32 v[6:7], null, s4, v25, 0
	v_lshrrev_b32_e32 v14, v2, v11
	s_delay_alu instid0(VALU_DEP_3) | instskip(NEXT) | instid1(VALU_DEP_2)
	v_or_b32_e32 v13, 0x1000, v4
	v_lshlrev_b32_e32 v16, v2, v14
	s_delay_alu instid0(VALU_DEP_2) | instskip(SKIP_1) | instid1(VALU_DEP_3)
	v_lshrrev_b32_e32 v15, v10, v13
	v_mov_b32_e32 v2, v7
	v_cmp_ne_u32_e32 vcc_lo, v16, v11
	s_delay_alu instid0(VALU_DEP_3) | instskip(SKIP_3) | instid1(VALU_DEP_3)
	v_lshlrev_b32_e32 v7, v10, v15
	v_add_nc_u32_e32 v10, 0xfffffc10, v8
	s_wait_alu 0xfffd
	v_cndmask_b32_e64 v11, 0, 1, vcc_lo
	v_cmp_ne_u32_e32 vcc_lo, v7, v13
	v_mad_co_u64_u32 v[7:8], null, s5, v25, v[2:3]
	v_lshl_or_b32 v2, v10, 12, v12
	s_delay_alu instid0(VALU_DEP_4)
	v_or_b32_e32 v8, v14, v11
	s_wait_alu 0xfffd
	v_cndmask_b32_e64 v13, 0, 1, vcc_lo
	v_cmp_gt_i32_e32 vcc_lo, 1, v10
	v_lshl_or_b32 v11, v9, 12, v4
	v_lshrrev_b32_e32 v3, 16, v3
	s_delay_alu instid0(VALU_DEP_4)
	v_or_b32_e32 v13, v15, v13
	s_wait_alu 0xfffd
	v_cndmask_b32_e32 v2, v2, v8, vcc_lo
	v_cmp_gt_i32_e32 vcc_lo, 1, v9
	s_wait_alu 0xfffd
	v_cndmask_b32_e32 v8, v11, v13, vcc_lo
	v_cmp_ne_u32_e32 vcc_lo, 0, v12
	v_and_b32_e32 v12, 7, v2
	v_lshrrev_b32_e32 v2, 2, v2
	s_delay_alu instid0(VALU_DEP_4)
	v_and_b32_e32 v13, 7, v8
	s_wait_alu 0xfffd
	v_cndmask_b32_e64 v11, 0, 1, vcc_lo
	v_cmp_ne_u32_e32 vcc_lo, 0, v4
	v_cmp_eq_u32_e64 s0, 3, v12
	v_lshrrev_b32_e32 v8, 2, v8
	v_cmp_lt_i32_e64 s1, 5, v13
	v_cmp_eq_u32_e64 s2, 3, v13
	s_wait_alu 0xfffd
	v_cndmask_b32_e64 v4, 0, 1, vcc_lo
	v_cmp_lt_i32_e32 vcc_lo, 5, v12
	v_lshl_or_b32 v11, v11, 9, 0x7c00
	s_delay_alu instid0(VALU_DEP_3)
	v_lshl_or_b32 v4, v4, 9, 0x7c00
	s_or_b32 vcc_lo, s0, vcc_lo
	s_wait_alu 0xfffe
	v_add_co_ci_u32_e32 v2, vcc_lo, 0, v2, vcc_lo
	s_or_b32 vcc_lo, s2, s1
	s_wait_alu 0xfffe
	v_add_co_ci_u32_e32 v8, vcc_lo, 0, v8, vcc_lo
	v_cmp_gt_i32_e32 vcc_lo, 31, v10
	s_wait_alu 0xfffd
	v_cndmask_b32_e32 v2, 0x7c00, v2, vcc_lo
	v_cmp_gt_i32_e32 vcc_lo, 31, v9
	s_wait_alu 0xfffd
	v_cndmask_b32_e32 v8, 0x7c00, v8, vcc_lo
	v_cmp_eq_u32_e32 vcc_lo, 0x40f, v10
	s_wait_alu 0xfffd
	v_cndmask_b32_e32 v2, v2, v11, vcc_lo
	v_cmp_eq_u32_e32 vcc_lo, 0x40f, v9
	s_delay_alu instid0(VALU_DEP_2) | instskip(SKIP_2) | instid1(VALU_DEP_1)
	v_and_or_b32 v2, 0x8000, v3, v2
	s_wait_alu 0xfffd
	v_cndmask_b32_e32 v4, v8, v4, vcc_lo
	v_and_or_b32 v4, 0x8000, v5, v4
	s_delay_alu instid0(VALU_DEP_3) | instskip(SKIP_1) | instid1(VALU_DEP_2)
	v_and_b32_e32 v5, 0xffff, v2
	v_lshlrev_b64_e32 v[2:3], 2, v[6:7]
	v_lshl_or_b32 v4, v4, 16, v5
	s_delay_alu instid0(VALU_DEP_2) | instskip(SKIP_1) | instid1(VALU_DEP_3)
	v_add_co_u32 v0, vcc_lo, v0, v2
	s_wait_alu 0xfffd
	v_add_co_ci_u32_e32 v1, vcc_lo, v1, v3, vcc_lo
	global_store_b32 v[0:1], v4, off
.LBB0_15:
	s_nop 0
	s_sendmsg sendmsg(MSG_DEALLOC_VGPRS)
	s_endpgm
	.section	.rodata,"a",@progbits
	.p2align	6, 0x0
	.amdhsa_kernel bluestein_single_back_len153_dim1_half_op_CI_CI
		.amdhsa_group_segment_fixed_size 4284
		.amdhsa_private_segment_fixed_size 0
		.amdhsa_kernarg_size 104
		.amdhsa_user_sgpr_count 2
		.amdhsa_user_sgpr_dispatch_ptr 0
		.amdhsa_user_sgpr_queue_ptr 0
		.amdhsa_user_sgpr_kernarg_segment_ptr 1
		.amdhsa_user_sgpr_dispatch_id 0
		.amdhsa_user_sgpr_private_segment_size 0
		.amdhsa_wavefront_size32 1
		.amdhsa_uses_dynamic_stack 0
		.amdhsa_enable_private_segment 0
		.amdhsa_system_sgpr_workgroup_id_x 1
		.amdhsa_system_sgpr_workgroup_id_y 0
		.amdhsa_system_sgpr_workgroup_id_z 0
		.amdhsa_system_sgpr_workgroup_info 0
		.amdhsa_system_vgpr_workitem_id 0
		.amdhsa_next_free_vgpr 213
		.amdhsa_next_free_sgpr 16
		.amdhsa_reserve_vcc 1
		.amdhsa_float_round_mode_32 0
		.amdhsa_float_round_mode_16_64 0
		.amdhsa_float_denorm_mode_32 3
		.amdhsa_float_denorm_mode_16_64 3
		.amdhsa_fp16_overflow 0
		.amdhsa_workgroup_processor_mode 1
		.amdhsa_memory_ordered 1
		.amdhsa_forward_progress 0
		.amdhsa_round_robin_scheduling 0
		.amdhsa_exception_fp_ieee_invalid_op 0
		.amdhsa_exception_fp_denorm_src 0
		.amdhsa_exception_fp_ieee_div_zero 0
		.amdhsa_exception_fp_ieee_overflow 0
		.amdhsa_exception_fp_ieee_underflow 0
		.amdhsa_exception_fp_ieee_inexact 0
		.amdhsa_exception_int_div_zero 0
	.end_amdhsa_kernel
	.text
.Lfunc_end0:
	.size	bluestein_single_back_len153_dim1_half_op_CI_CI, .Lfunc_end0-bluestein_single_back_len153_dim1_half_op_CI_CI
                                        ; -- End function
	.section	.AMDGPU.csdata,"",@progbits
; Kernel info:
; codeLenInByte = 30012
; NumSgprs: 18
; NumVgprs: 213
; ScratchSize: 0
; MemoryBound: 0
; FloatMode: 240
; IeeeMode: 1
; LDSByteSize: 4284 bytes/workgroup (compile time only)
; SGPRBlocks: 2
; VGPRBlocks: 26
; NumSGPRsForWavesPerEU: 18
; NumVGPRsForWavesPerEU: 213
; Occupancy: 7
; WaveLimiterHint : 1
; COMPUTE_PGM_RSRC2:SCRATCH_EN: 0
; COMPUTE_PGM_RSRC2:USER_SGPR: 2
; COMPUTE_PGM_RSRC2:TRAP_HANDLER: 0
; COMPUTE_PGM_RSRC2:TGID_X_EN: 1
; COMPUTE_PGM_RSRC2:TGID_Y_EN: 0
; COMPUTE_PGM_RSRC2:TGID_Z_EN: 0
; COMPUTE_PGM_RSRC2:TIDIG_COMP_CNT: 0
	.text
	.p2alignl 7, 3214868480
	.fill 96, 4, 3214868480
	.type	__hip_cuid_efbf506a25c627ee,@object ; @__hip_cuid_efbf506a25c627ee
	.section	.bss,"aw",@nobits
	.globl	__hip_cuid_efbf506a25c627ee
__hip_cuid_efbf506a25c627ee:
	.byte	0                               ; 0x0
	.size	__hip_cuid_efbf506a25c627ee, 1

	.ident	"AMD clang version 19.0.0git (https://github.com/RadeonOpenCompute/llvm-project roc-6.4.0 25133 c7fe45cf4b819c5991fe208aaa96edf142730f1d)"
	.section	".note.GNU-stack","",@progbits
	.addrsig
	.addrsig_sym __hip_cuid_efbf506a25c627ee
	.amdgpu_metadata
---
amdhsa.kernels:
  - .args:
      - .actual_access:  read_only
        .address_space:  global
        .offset:         0
        .size:           8
        .value_kind:     global_buffer
      - .actual_access:  read_only
        .address_space:  global
        .offset:         8
        .size:           8
        .value_kind:     global_buffer
      - .actual_access:  read_only
        .address_space:  global
        .offset:         16
        .size:           8
        .value_kind:     global_buffer
      - .actual_access:  read_only
        .address_space:  global
        .offset:         24
        .size:           8
        .value_kind:     global_buffer
      - .actual_access:  read_only
        .address_space:  global
        .offset:         32
        .size:           8
        .value_kind:     global_buffer
      - .offset:         40
        .size:           8
        .value_kind:     by_value
      - .address_space:  global
        .offset:         48
        .size:           8
        .value_kind:     global_buffer
      - .address_space:  global
        .offset:         56
        .size:           8
        .value_kind:     global_buffer
      - .address_space:  global
        .offset:         64
        .size:           8
        .value_kind:     global_buffer
      - .address_space:  global
        .offset:         72
        .size:           8
        .value_kind:     global_buffer
      - .offset:         80
        .size:           4
        .value_kind:     by_value
      - .address_space:  global
        .offset:         88
        .size:           8
        .value_kind:     global_buffer
      - .address_space:  global
        .offset:         96
        .size:           8
        .value_kind:     global_buffer
    .group_segment_fixed_size: 4284
    .kernarg_segment_align: 8
    .kernarg_segment_size: 104
    .language:       OpenCL C
    .language_version:
      - 2
      - 0
    .max_flat_workgroup_size: 119
    .name:           bluestein_single_back_len153_dim1_half_op_CI_CI
    .private_segment_fixed_size: 0
    .sgpr_count:     18
    .sgpr_spill_count: 0
    .symbol:         bluestein_single_back_len153_dim1_half_op_CI_CI.kd
    .uniform_work_group_size: 1
    .uses_dynamic_stack: false
    .vgpr_count:     213
    .vgpr_spill_count: 0
    .wavefront_size: 32
    .workgroup_processor_mode: 1
amdhsa.target:   amdgcn-amd-amdhsa--gfx1201
amdhsa.version:
  - 1
  - 2
...

	.end_amdgpu_metadata
